;; amdgpu-corpus repo=ROCm/rocFFT kind=compiled arch=gfx1201 opt=O3
	.text
	.amdgcn_target "amdgcn-amd-amdhsa--gfx1201"
	.amdhsa_code_object_version 6
	.protected	bluestein_single_fwd_len1071_dim1_sp_op_CI_CI ; -- Begin function bluestein_single_fwd_len1071_dim1_sp_op_CI_CI
	.globl	bluestein_single_fwd_len1071_dim1_sp_op_CI_CI
	.p2align	8
	.type	bluestein_single_fwd_len1071_dim1_sp_op_CI_CI,@function
bluestein_single_fwd_len1071_dim1_sp_op_CI_CI: ; @bluestein_single_fwd_len1071_dim1_sp_op_CI_CI
; %bb.0:
	s_load_b128 s[8:11], s[0:1], 0x28
	v_mul_u32_u24_e32 v1, 0x227, v0
	s_mov_b32 s2, exec_lo
	v_mov_b32_e32 v85, 0
	s_delay_alu instid0(VALU_DEP_2) | instskip(NEXT) | instid1(VALU_DEP_1)
	v_lshrrev_b32_e32 v1, 16, v1
	v_add_nc_u32_e32 v84, ttmp9, v1
	s_wait_kmcnt 0x0
	s_delay_alu instid0(VALU_DEP_1)
	v_cmpx_gt_u64_e64 s[8:9], v[84:85]
	s_cbranch_execz .LBB0_23
; %bb.1:
	s_clause 0x1
	s_load_b64 s[8:9], s[0:1], 0x0
	s_load_b64 s[12:13], s[0:1], 0x38
	v_mul_lo_u16 v1, 0x77, v1
	s_delay_alu instid0(VALU_DEP_1) | instskip(NEXT) | instid1(VALU_DEP_1)
	v_sub_nc_u16 v0, v0, v1
	v_and_b32_e32 v94, 0xffff, v0
	v_cmp_gt_u16_e32 vcc_lo, 63, v0
	s_delay_alu instid0(VALU_DEP_2)
	v_lshlrev_b32_e32 v93, 3, v94
	s_and_saveexec_b32 s3, vcc_lo
	s_cbranch_execz .LBB0_3
; %bb.2:
	s_load_b64 s[4:5], s[0:1], 0x18
	s_delay_alu instid0(VALU_DEP_1)
	v_add_nc_u32_e32 v70, 0x400, v93
	v_add_nc_u32_e32 v72, 0xc00, v93
	s_wait_kmcnt 0x0
	s_load_b128 s[4:7], s[4:5], 0x0
	s_wait_kmcnt 0x0
	v_mad_co_u64_u32 v[0:1], null, s6, v84, 0
	v_mad_co_u64_u32 v[2:3], null, s4, v94, 0
	s_delay_alu instid0(VALU_DEP_1) | instskip(NEXT) | instid1(VALU_DEP_1)
	v_mad_co_u64_u32 v[4:5], null, s7, v84, v[1:2]
	v_mad_co_u64_u32 v[5:6], null, s5, v94, v[3:4]
	v_mov_b32_e32 v1, v4
	s_mul_u64 s[4:5], s[4:5], 0x1f8
	s_delay_alu instid0(VALU_DEP_1) | instskip(NEXT) | instid1(VALU_DEP_3)
	v_lshlrev_b64_e32 v[0:1], 3, v[0:1]
	v_mov_b32_e32 v3, v5
	s_delay_alu instid0(VALU_DEP_2) | instskip(NEXT) | instid1(VALU_DEP_2)
	v_add_co_u32 v10, s2, s10, v0
	v_lshlrev_b64_e32 v[2:3], 3, v[2:3]
	s_delay_alu instid0(VALU_DEP_4)
	v_add_co_ci_u32_e64 v11, s2, s11, v1, s2
	s_clause 0xb
	global_load_b64 v[0:1], v93, s[8:9]
	global_load_b64 v[4:5], v93, s[8:9] offset:504
	global_load_b64 v[6:7], v93, s[8:9] offset:1008
	;; [unrolled: 1-line block ×11, first 2 shown]
	v_add_co_u32 v2, s2, v10, v2
	s_wait_alu 0xf1ff
	v_add_co_ci_u32_e64 v3, s2, v11, v3, s2
	s_clause 0x2
	global_load_b64 v[32:33], v93, s[8:9] offset:6048
	global_load_b64 v[34:35], v93, s[8:9] offset:6552
	;; [unrolled: 1-line block ×3, first 2 shown]
	s_wait_alu 0xfffe
	v_add_co_u32 v10, s2, v2, s4
	s_wait_alu 0xf1ff
	v_add_co_ci_u32_e64 v11, s2, s5, v3, s2
	s_delay_alu instid0(VALU_DEP_2) | instskip(SKIP_1) | instid1(VALU_DEP_2)
	v_add_co_u32 v20, s2, v10, s4
	s_wait_alu 0xf1ff
	v_add_co_ci_u32_e64 v21, s2, s5, v11, s2
	s_delay_alu instid0(VALU_DEP_2) | instskip(SKIP_1) | instid1(VALU_DEP_2)
	;; [unrolled: 4-line block ×3, first 2 shown]
	v_add_co_u32 v38, s2, v30, s4
	s_wait_alu 0xf1ff
	v_add_co_ci_u32_e64 v39, s2, s5, v31, s2
	s_clause 0x3
	global_load_b64 v[2:3], v[2:3], off
	global_load_b64 v[10:11], v[10:11], off
	;; [unrolled: 1-line block ×4, first 2 shown]
	v_add_co_u32 v40, s2, v38, s4
	s_wait_alu 0xf1ff
	v_add_co_ci_u32_e64 v41, s2, s5, v39, s2
	global_load_b64 v[38:39], v[38:39], off
	v_add_co_u32 v42, s2, v40, s4
	s_wait_alu 0xf1ff
	v_add_co_ci_u32_e64 v43, s2, s5, v41, s2
	global_load_b64 v[40:41], v[40:41], off
	;; [unrolled: 4-line block ×11, first 2 shown]
	v_add_co_u32 v62, s2, v60, s4
	s_wait_alu 0xf1ff
	v_add_co_ci_u32_e64 v63, s2, s5, v61, s2
	global_load_b64 v[64:65], v93, s[8:9] offset:7560
	global_load_b64 v[60:61], v[60:61], off
	global_load_b64 v[66:67], v93, s[8:9] offset:8064
	global_load_b64 v[62:63], v[62:63], off
	v_add_nc_u32_e32 v74, 0x1400, v93
	v_add_nc_u32_e32 v73, 0x1000, v93
	;; [unrolled: 1-line block ×3, first 2 shown]
	s_wait_loadcnt 0x12
	v_mul_f32_e32 v68, v3, v1
	v_mul_f32_e32 v69, v2, v1
	s_wait_loadcnt 0x11
	v_mul_f32_e32 v1, v11, v5
	s_delay_alu instid0(VALU_DEP_2) | instskip(NEXT) | instid1(VALU_DEP_2)
	v_fma_f32 v69, v3, v0, -v69
	v_fmac_f32_e32 v1, v10, v4
	v_dual_fmac_f32 v68, v2, v0 :: v_dual_add_nc_u32 v71, 0x800, v93
	s_wait_loadcnt 0x10
	v_dual_mul_f32 v0, v10, v5 :: v_dual_mul_f32 v3, v21, v7
	v_mul_f32_e32 v7, v20, v7
	s_wait_loadcnt 0xf
	v_mul_f32_e32 v5, v31, v9
	v_mul_f32_e32 v9, v30, v9
	v_fma_f32 v2, v11, v4, -v0
	s_wait_loadcnt 0xe
	v_dual_fmac_f32 v3, v20, v6 :: v_dual_mul_f32 v0, v39, v13
	v_fma_f32 v4, v21, v6, -v7
	v_fmac_f32_e32 v5, v30, v8
	v_fma_f32 v6, v31, v8, -v9
	v_mul_f32_e32 v7, v38, v13
	ds_store_2addr_b64 v93, v[68:69], v[1:2] offset1:63
	s_wait_loadcnt 0xd
	v_mul_f32_e32 v2, v41, v15
	v_fmac_f32_e32 v0, v38, v12
	ds_store_2addr_b64 v93, v[3:4], v[5:6] offset0:126 offset1:189
	s_wait_loadcnt 0xc
	v_dual_mul_f32 v3, v40, v15 :: v_dual_mul_f32 v4, v43, v17
	v_fmac_f32_e32 v2, v40, v14
	s_wait_loadcnt 0xa
	v_mul_f32_e32 v8, v47, v23
	v_fma_f32 v1, v39, v12, -v7
	v_fma_f32 v3, v41, v14, -v3
	v_mul_f32_e32 v6, v45, v19
	s_delay_alu instid0(VALU_DEP_4)
	v_dual_mul_f32 v7, v44, v19 :: v_dual_fmac_f32 v8, v46, v22
	v_fmac_f32_e32 v4, v42, v16
	ds_store_2addr_b64 v70, v[0:1], v[2:3] offset0:124 offset1:187
	s_wait_loadcnt 0x9
	v_mul_f32_e32 v0, v49, v25
	v_dual_mul_f32 v5, v42, v17 :: v_dual_fmac_f32 v6, v44, v18
	v_fma_f32 v7, v45, v18, -v7
	s_delay_alu instid0(VALU_DEP_3) | instskip(NEXT) | instid1(VALU_DEP_3)
	v_dual_mul_f32 v9, v46, v23 :: v_dual_fmac_f32 v0, v48, v24
	v_fma_f32 v5, v43, v16, -v5
	s_wait_loadcnt 0x8
	v_dual_mul_f32 v1, v48, v25 :: v_dual_mul_f32 v2, v51, v27
	ds_store_2addr_b64 v71, v[4:5], v[6:7] offset0:122 offset1:185
	s_wait_loadcnt 0x6
	v_mul_f32_e32 v6, v55, v33
	v_mul_f32_e32 v7, v54, v33
	v_dual_mul_f32 v4, v53, v29 :: v_dual_mul_f32 v3, v50, v27
	s_wait_loadcnt 0x5
	v_dual_mul_f32 v10, v57, v35 :: v_dual_mul_f32 v5, v52, v29
	v_dual_fmac_f32 v2, v50, v26 :: v_dual_mul_f32 v11, v56, v35
	v_fmac_f32_e32 v6, v54, v32
	s_wait_loadcnt 0x4
	v_mul_f32_e32 v12, v59, v37
	v_dual_fmac_f32 v10, v56, v34 :: v_dual_mul_f32 v13, v58, v37
	s_wait_loadcnt 0x2
	v_mul_f32_e32 v14, v61, v65
	s_wait_loadcnt 0x0
	v_dual_mul_f32 v15, v60, v65 :: v_dual_mul_f32 v16, v63, v67
	v_mul_f32_e32 v17, v62, v67
	v_fma_f32 v9, v47, v22, -v9
	v_fma_f32 v1, v49, v24, -v1
	v_fmac_f32_e32 v4, v52, v28
	v_fma_f32 v3, v51, v26, -v3
	v_fma_f32 v5, v53, v28, -v5
	;; [unrolled: 1-line block ×4, first 2 shown]
	v_fmac_f32_e32 v12, v58, v36
	v_fma_f32 v13, v59, v36, -v13
	v_fmac_f32_e32 v14, v60, v64
	v_fma_f32 v15, v61, v64, -v15
	;; [unrolled: 2-line block ×3, first 2 shown]
	ds_store_2addr_b64 v72, v[8:9], v[0:1] offset0:120 offset1:183
	ds_store_2addr_b64 v73, v[2:3], v[4:5] offset0:118 offset1:181
	;; [unrolled: 1-line block ×4, first 2 shown]
	ds_store_b64 v93, v[16:17] offset:8064
.LBB0_3:
	s_or_b32 exec_lo, exec_lo, s3
	v_mov_b32_e32 v4, 0
	v_mov_b32_e32 v5, 0
	global_wb scope:SCOPE_SE
	s_wait_dscnt 0x0
	s_wait_kmcnt 0x0
	s_barrier_signal -1
	s_barrier_wait -1
	global_inv scope:SCOPE_SE
                                        ; implicit-def: $vgpr16
                                        ; implicit-def: $vgpr12
                                        ; implicit-def: $vgpr8
                                        ; implicit-def: $vgpr36
                                        ; implicit-def: $vgpr26
                                        ; implicit-def: $vgpr34
                                        ; implicit-def: $vgpr30
                                        ; implicit-def: $vgpr22
	s_and_saveexec_b32 s2, vcc_lo
	s_cbranch_execz .LBB0_5
; %bb.4:
	v_add_nc_u32_e32 v0, 0x400, v93
	v_add_nc_u32_e32 v1, 0x800, v93
	;; [unrolled: 1-line block ×3, first 2 shown]
	ds_load_2addr_b64 v[4:7], v93 offset1:63
	ds_load_2addr_b64 v[20:23], v93 offset0:126 offset1:189
	v_add_nc_u32_e32 v3, 0x1400, v93
	ds_load_2addr_b64 v[28:31], v0 offset0:124 offset1:187
	v_add_nc_u32_e32 v0, 0x1000, v93
	v_add_nc_u32_e32 v8, 0x1800, v93
	ds_load_2addr_b64 v[32:35], v1 offset0:122 offset1:185
	ds_load_2addr_b64 v[24:27], v2 offset0:120 offset1:183
	;; [unrolled: 1-line block ×5, first 2 shown]
	ds_load_b64 v[36:37], v93 offset:8064
.LBB0_5:
	s_wait_alu 0xfffe
	s_or_b32 exec_lo, exec_lo, s2
	s_wait_dscnt 0x0
	v_dual_sub_f32 v49, v7, v37 :: v_dual_sub_f32 v48, v6, v36
	v_dual_add_f32 v70, v36, v6 :: v_dual_add_f32 v71, v37, v7
	v_dual_add_f32 v72, v10, v20 :: v_dual_sub_f32 v51, v21, v11
	s_delay_alu instid0(VALU_DEP_3) | instskip(SKIP_1) | instid1(VALU_DEP_3)
	v_dual_mul_f32 v38, 0xbeb8f4ab, v49 :: v_dual_mul_f32 v39, 0xbeb8f4ab, v48
	v_dual_sub_f32 v50, v20, v10 :: v_dual_add_f32 v73, v11, v21
	v_mul_f32_e32 v54, 0xbf2c7751, v51
	v_dual_sub_f32 v52, v22, v8 :: v_dual_add_f32 v75, v8, v22
	s_delay_alu instid0(VALU_DEP_4) | instskip(SKIP_3) | instid1(VALU_DEP_3)
	v_fma_f32 v1, 0x3f6eb680, v71, -v39
	v_dual_fmamk_f32 v0, v70, 0x3f6eb680, v38 :: v_dual_sub_f32 v53, v23, v9
	v_mul_f32_e32 v55, 0xbf2c7751, v50
	v_dual_fmamk_f32 v2, v72, 0x3f3d2fb0, v54 :: v_dual_add_f32 v77, v9, v23
	v_dual_add_f32 v1, v1, v5 :: v_dual_add_f32 v0, v0, v4
	s_delay_alu instid0(VALU_DEP_4) | instskip(NEXT) | instid1(VALU_DEP_4)
	v_dual_mul_f32 v56, 0xbf65296c, v53 :: v_dual_mul_f32 v57, 0xbf65296c, v52
	v_fma_f32 v3, 0x3f3d2fb0, v73, -v55
	v_dual_sub_f32 v95, v28, v14 :: v_dual_add_f32 v78, v14, v28
	s_delay_alu instid0(VALU_DEP_4) | instskip(NEXT) | instid1(VALU_DEP_4)
	v_add_f32_e32 v0, v2, v0
	v_dual_fmamk_f32 v2, v75, 0x3ee437d1, v56 :: v_dual_sub_f32 v121, v29, v15
	s_delay_alu instid0(VALU_DEP_4) | instskip(SKIP_2) | instid1(VALU_DEP_4)
	v_add_f32_e32 v1, v3, v1
	v_fma_f32 v3, 0x3ee437d1, v77, -v57
	v_dual_add_f32 v76, v15, v29 :: v_dual_sub_f32 v129, v30, v12
	v_dual_mul_f32 v59, 0xbf7ee86f, v121 :: v_dual_mul_f32 v60, 0xbf7ee86f, v95
	v_dual_mul_f32 v58, 0xbf2c7751, v49 :: v_dual_mul_f32 v61, 0xbf2c7751, v48
	s_delay_alu instid0(VALU_DEP_4) | instskip(SKIP_1) | instid1(VALU_DEP_4)
	v_dual_add_f32 v0, v2, v0 :: v_dual_add_f32 v1, v3, v1
	v_dual_sub_f32 v130, v31, v13 :: v_dual_sub_f32 v135, v33, v19
	v_fma_f32 v3, 0x3dbcf732, v76, -v60
	v_dual_add_f32 v92, v12, v30 :: v_dual_mul_f32 v63, 0xbf763a35, v129
	v_sub_f32_e32 v132, v32, v18
	v_add_f32_e32 v98, v13, v31
	s_delay_alu instid0(VALU_DEP_4)
	v_dual_fmamk_f32 v2, v78, 0x3dbcf732, v59 :: v_dual_add_f32 v1, v3, v1
	v_dual_mul_f32 v62, 0xbf763a35, v130 :: v_dual_add_f32 v101, v19, v33
	v_dual_mul_f32 v64, 0xbf4c4adb, v135 :: v_dual_sub_f32 v145, v24, v26
	v_mul_f32_e32 v65, 0xbf4c4adb, v132
	v_fma_f32 v3, 0xbe8c1d8e, v98, -v63
	v_sub_f32_e32 v142, v34, v16
	v_fmamk_f32 v40, v70, 0x3f3d2fb0, v58
	v_mul_f32_e32 v82, 0xbf7ee86f, v51
	s_delay_alu instid0(VALU_DEP_4)
	v_dual_add_f32 v0, v2, v0 :: v_dual_add_f32 v1, v3, v1
	v_dual_fmamk_f32 v2, v92, 0xbe8c1d8e, v62 :: v_dual_add_f32 v103, v17, v35
	v_fma_f32 v3, 0xbf1a4643, v101, -v65
	v_dual_add_f32 v102, v16, v34 :: v_dual_mul_f32 v83, 0xbf4c4adb, v53
	v_dual_mul_f32 v69, 0xbe3c28d5, v145 :: v_dual_add_f32 v100, v18, v32
	v_dual_mul_f32 v67, 0xbf06c442, v142 :: v_dual_add_f32 v40, v40, v4
	v_mul_f32_e32 v97, 0x3f06c442, v129
	v_dual_fmamk_f32 v42, v72, 0x3dbcf732, v82 :: v_dual_add_f32 v1, v3, v1
	s_delay_alu instid0(VALU_DEP_3) | instskip(SKIP_1) | instid1(VALU_DEP_3)
	v_fma_f32 v3, 0xbf59a7d5, v103, -v67
	v_dual_mul_f32 v81, 0x3f65296c, v142 :: v_dual_add_f32 v0, v2, v0
	v_dual_add_f32 v113, v27, v25 :: v_dual_add_f32 v40, v42, v40
	v_fmamk_f32 v42, v75, 0xbf1a4643, v83
	v_sub_f32_e32 v144, v35, v17
	v_dual_fmamk_f32 v2, v100, 0xbf1a4643, v64 :: v_dual_add_f32 v1, v3, v1
	v_dual_add_f32 v112, v26, v24 :: v_dual_mul_f32 v89, 0x3f06c442, v130
	s_delay_alu instid0(VALU_DEP_4) | instskip(NEXT) | instid1(VALU_DEP_4)
	v_add_f32_e32 v3, v42, v40
	v_mul_f32_e32 v66, 0xbf06c442, v144
	s_delay_alu instid0(VALU_DEP_4) | instskip(SKIP_2) | instid1(VALU_DEP_4)
	v_dual_add_f32 v0, v2, v0 :: v_dual_mul_f32 v91, 0xbe3c28d5, v95
	v_fma_f32 v41, 0x3f3d2fb0, v71, -v61
	v_dual_mul_f32 v96, 0xbf7ee86f, v50 :: v_dual_mul_f32 v107, 0xbf7ee86f, v144
	v_fmamk_f32 v2, v102, 0xbf59a7d5, v66
	v_dual_mul_f32 v90, 0xbf4c4adb, v52 :: v_dual_mul_f32 v109, 0xbf4c4adb, v51
	v_mul_f32_e32 v88, 0xbe3c28d5, v121
	v_mul_f32_e32 v74, 0x3f763a35, v135
	s_delay_alu instid0(VALU_DEP_4)
	v_add_f32_e32 v0, v2, v0
	v_dual_add_f32 v2, v41, v5 :: v_dual_mul_f32 v99, 0x3f763a35, v132
	v_fma_f32 v41, 0x3dbcf732, v73, -v96
	v_sub_f32_e32 v146, v25, v27
	v_fma_f32 v40, 0xbf1a4643, v77, -v90
	v_fma_f32 v43, 0xbf7ba420, v113, -v69
	s_delay_alu instid0(VALU_DEP_4) | instskip(SKIP_3) | instid1(VALU_DEP_3)
	v_dual_mul_f32 v79, 0x3f65296c, v144 :: v_dual_add_f32 v2, v41, v2
	v_fmamk_f32 v41, v78, 0xbf7ba420, v88
	v_mul_f32_e32 v68, 0xbe3c28d5, v146
	v_dual_mul_f32 v80, 0x3eb8f4ab, v146 :: v_dual_mul_f32 v87, 0x3eb8f4ab, v145
	v_dual_add_f32 v2, v40, v2 :: v_dual_add_f32 v3, v41, v3
	v_fma_f32 v40, 0xbf7ba420, v76, -v91
	v_fmamk_f32 v41, v92, 0xbf59a7d5, v89
	v_mul_f32_e32 v108, 0xbf65296c, v49
	v_dual_mul_f32 v110, 0x3e3c28d5, v53 :: v_dual_mul_f32 v117, 0x3e3c28d5, v52
	s_delay_alu instid0(VALU_DEP_4)
	v_add_f32_e32 v2, v40, v2
	v_fma_f32 v40, 0xbf59a7d5, v98, -v97
	v_add_f32_e32 v3, v41, v3
	v_dual_fmamk_f32 v41, v100, 0xbe8c1d8e, v74 :: v_dual_add_f32 v86, v43, v1
	v_fma_f32 v43, 0x3f6eb680, v113, -v87
	v_fmamk_f32 v42, v112, 0xbf7ba420, v68
	v_dual_mul_f32 v104, 0x3f763a35, v121 :: v_dual_mul_f32 v141, 0x3f763a35, v52
	v_mul_f32_e32 v115, 0xbf65296c, v48
	v_mul_f32_e32 v105, 0x3f2c7751, v130
	s_delay_alu instid0(VALU_DEP_4)
	v_dual_add_f32 v85, v42, v0 :: v_dual_add_f32 v0, v40, v2
	v_add_f32_e32 v2, v41, v3
	v_fma_f32 v3, 0xbe8c1d8e, v101, -v99
	v_fmamk_f32 v40, v70, 0x3ee437d1, v108
	v_fmamk_f32 v42, v72, 0xbf1a4643, v109
	v_fma_f32 v41, 0x3ee437d1, v103, -v81
	v_mul_f32_e32 v116, 0xbf4c4adb, v50
	v_dual_add_f32 v0, v3, v0 :: v_dual_fmamk_f32 v3, v102, 0x3ee437d1, v79
	v_add_f32_e32 v40, v40, v4
	v_mul_f32_e32 v106, 0xbeb8f4ab, v135
	s_delay_alu instid0(VALU_DEP_3) | instskip(NEXT) | instid1(VALU_DEP_3)
	v_dual_mul_f32 v119, 0x3f2c7751, v129 :: v_dual_add_f32 v0, v41, v0
	v_dual_add_f32 v1, v3, v2 :: v_dual_add_f32 v2, v42, v40
	v_fmamk_f32 v3, v75, 0xbf7ba420, v110
	v_fma_f32 v41, 0x3ee437d1, v71, -v115
	v_fma_f32 v42, 0xbf1a4643, v73, -v116
	v_mul_f32_e32 v125, 0xbf7ee86f, v49
	v_fmamk_f32 v40, v112, 0x3f6eb680, v80
	v_dual_add_f32 v2, v3, v2 :: v_dual_fmamk_f32 v3, v78, 0xbe8c1d8e, v104
	v_dual_add_f32 v41, v41, v5 :: v_dual_mul_f32 v118, 0x3f763a35, v95
	v_mul_f32_e32 v123, 0x3f763a35, v53
	v_mul_f32_e32 v126, 0xbe3c28d5, v51
	s_delay_alu instid0(VALU_DEP_4) | instskip(NEXT) | instid1(VALU_DEP_4)
	v_dual_add_f32 v2, v3, v2 :: v_dual_fmamk_f32 v3, v92, 0x3f3d2fb0, v105
	v_add_f32_e32 v41, v42, v41
	v_fma_f32 v42, 0xbf7ba420, v77, -v117
	v_fmamk_f32 v44, v102, 0x3dbcf732, v107
	v_mul_f32_e32 v111, 0xbf06c442, v146
	v_dual_add_f32 v2, v3, v2 :: v_dual_fmamk_f32 v3, v100, 0x3f6eb680, v106
	s_delay_alu instid0(VALU_DEP_4) | instskip(SKIP_4) | instid1(VALU_DEP_4)
	v_add_f32_e32 v41, v42, v41
	v_fma_f32 v42, 0xbe8c1d8e, v76, -v118
	v_mul_f32_e32 v114, 0xbeb8f4ab, v132
	v_mul_f32_e32 v139, 0xbe3c28d5, v50
	v_dual_add_f32 v3, v3, v2 :: v_dual_add_f32 v2, v40, v1
	v_add_f32_e32 v40, v42, v41
	v_fma_f32 v41, 0x3f3d2fb0, v98, -v119
	v_fmamk_f32 v42, v112, 0xbf59a7d5, v111
	s_delay_alu instid0(VALU_DEP_4) | instskip(SKIP_1) | instid1(VALU_DEP_4)
	v_add_f32_e32 v1, v44, v3
	v_dual_add_f32 v3, v43, v0 :: v_dual_mul_f32 v124, 0x3eb8f4ab, v121
	v_add_f32_e32 v40, v41, v40
	v_fma_f32 v41, 0x3f6eb680, v101, -v114
	s_delay_alu instid0(VALU_DEP_4) | instskip(SKIP_2) | instid1(VALU_DEP_4)
	v_dual_add_f32 v0, v42, v1 :: v_dual_mul_f32 v127, 0xbf65296c, v130
	v_fmamk_f32 v1, v70, 0x3dbcf732, v125
	v_mul_f32_e32 v138, 0xbf7ee86f, v48
	v_dual_add_f32 v40, v41, v40 :: v_dual_fmamk_f32 v41, v72, 0xbf7ba420, v126
	s_delay_alu instid0(VALU_DEP_3) | instskip(SKIP_1) | instid1(VALU_DEP_4)
	v_dual_fmamk_f32 v44, v75, 0xbe8c1d8e, v123 :: v_dual_add_f32 v1, v1, v4
	v_dual_mul_f32 v122, 0xbf06c442, v145 :: v_dual_mul_f32 v131, 0xbf06c442, v135
	v_fma_f32 v42, 0x3dbcf732, v71, -v138
	s_delay_alu instid0(VALU_DEP_3) | instskip(SKIP_1) | instid1(VALU_DEP_3)
	v_dual_mul_f32 v136, 0x3eb8f4ab, v95 :: v_dual_add_f32 v1, v41, v1
	v_dual_mul_f32 v133, 0xbf65296c, v129 :: v_dual_mul_f32 v158, 0xbf65296c, v95
	v_add_f32_e32 v41, v42, v5
	v_fma_f32 v42, 0xbf7ba420, v73, -v139
	s_delay_alu instid0(VALU_DEP_4)
	v_add_f32_e32 v1, v44, v1
	v_fma_f32 v44, 0xbf59a7d5, v113, -v122
	v_mul_f32_e32 v120, 0xbf7ee86f, v142
	v_fmamk_f32 v45, v100, 0xbf59a7d5, v131
	v_add_f32_e32 v41, v42, v41
	v_fma_f32 v42, 0xbe8c1d8e, v77, -v141
	v_dual_mul_f32 v128, 0x3f4c4adb, v144 :: v_dual_mul_f32 v137, 0x3f4c4adb, v142
	v_fma_f32 v43, 0x3dbcf732, v103, -v120
	v_fma_f32 v47, 0x3ee437d1, v76, -v158
	s_delay_alu instid0(VALU_DEP_4) | instskip(SKIP_4) | instid1(VALU_DEP_4)
	v_add_f32_e32 v41, v42, v41
	v_fma_f32 v42, 0x3f6eb680, v76, -v136
	v_mul_f32_e32 v134, 0xbf06c442, v132
	v_dual_add_f32 v40, v43, v40 :: v_dual_fmamk_f32 v43, v78, 0x3f6eb680, v124
	v_mul_f32_e32 v147, 0xbf763a35, v49
	v_add_f32_e32 v41, v42, v41
	v_mul_f32_e32 v159, 0xbf763a35, v48
	s_delay_alu instid0(VALU_DEP_4) | instskip(SKIP_4) | instid1(VALU_DEP_4)
	v_dual_mul_f32 v160, 0x3f06c442, v50 :: v_dual_add_f32 v1, v43, v1
	v_fmamk_f32 v43, v92, 0x3ee437d1, v127
	v_mul_f32_e32 v149, 0x3f2c7751, v53
	v_dual_mul_f32 v161, 0x3f2c7751, v52 :: v_dual_mul_f32 v140, 0x3f2c7751, v146
	v_mul_f32_e32 v150, 0xbf65296c, v121
	v_add_f32_e32 v42, v43, v1
	v_fma_f32 v43, 0x3ee437d1, v98, -v133
	v_add_f32_e32 v1, v44, v40
	v_fma_f32 v44, 0xbe8c1d8e, v71, -v159
	v_fmamk_f32 v46, v112, 0x3f3d2fb0, v140
	v_add_f32_e32 v42, v45, v42
	v_dual_add_f32 v40, v43, v41 :: v_dual_fmamk_f32 v43, v102, 0xbf1a4643, v128
	v_fma_f32 v41, 0xbf59a7d5, v101, -v134
	v_add_f32_e32 v44, v44, v5
	v_fma_f32 v45, 0xbf59a7d5, v73, -v160
	v_dual_mul_f32 v154, 0xbe3c28d5, v129 :: v_dual_mul_f32 v163, 0xbe3c28d5, v144
	s_delay_alu instid0(VALU_DEP_4)
	v_dual_add_f32 v40, v41, v40 :: v_dual_add_f32 v41, v43, v42
	v_fmamk_f32 v43, v70, 0xbe8c1d8e, v147
	v_fma_f32 v42, 0xbf1a4643, v103, -v137
	v_mul_f32_e32 v151, 0x3f7ee86f, v135
	v_mul_f32_e32 v157, 0x3f7ee86f, v132
	;; [unrolled: 1-line block ×3, first 2 shown]
	v_dual_mul_f32 v153, 0xbeb8f4ab, v144 :: v_dual_mul_f32 v156, 0xbeb8f4ab, v142
	v_add_f32_e32 v42, v42, v40
	v_mul_f32_e32 v148, 0x3f06c442, v51
	v_add_f32_e32 v40, v43, v4
	v_mul_f32_e32 v180, 0xbf06c442, v48
	v_dual_mul_f32 v169, 0x3f763a35, v51 :: v_dual_mul_f32 v172, 0x3f763a35, v50
	s_delay_alu instid0(VALU_DEP_4) | instskip(SKIP_1) | instid1(VALU_DEP_4)
	v_fmamk_f32 v43, v72, 0xbf59a7d5, v148
	v_dual_mul_f32 v170, 0xbeb8f4ab, v53 :: v_dual_mul_f32 v173, 0xbeb8f4ab, v52
	v_fmamk_f32 v183, v71, 0xbf59a7d5, v180
	v_dual_mul_f32 v174, 0xbf06c442, v95 :: v_dual_mul_f32 v179, 0xbf06c442, v49
	s_delay_alu instid0(VALU_DEP_4)
	v_add_f32_e32 v40, v43, v40
	v_dual_add_f32 v43, v45, v44 :: v_dual_fmamk_f32 v44, v75, 0x3f3d2fb0, v149
	v_fma_f32 v45, 0x3f3d2fb0, v77, -v161
	v_dual_add_f32 v183, v183, v5 :: v_dual_mul_f32 v168, 0x3f7ee86f, v130
	v_mul_f32_e32 v175, 0x3f7ee86f, v129
	v_mul_f32_e32 v167, 0xbf4c4adb, v49
	s_delay_alu instid0(VALU_DEP_4) | instskip(SKIP_3) | instid1(VALU_DEP_4)
	v_add_f32_e32 v43, v45, v43
	v_dual_fmamk_f32 v45, v78, 0x3ee437d1, v150 :: v_dual_add_f32 v44, v44, v40
	v_add_f32_e32 v40, v46, v41
	v_dual_mul_f32 v164, 0xbf2c7751, v135 :: v_dual_mul_f32 v177, 0xbf2c7751, v132
	v_add_f32_e32 v43, v47, v43
	s_delay_alu instid0(VALU_DEP_4) | instskip(SKIP_4) | instid1(VALU_DEP_4)
	v_add_f32_e32 v41, v45, v44
	v_fma_f32 v45, 0xbf7ba420, v98, -v154
	v_fmamk_f32 v44, v92, 0xbf7ba420, v152
	v_fma_f32 v47, 0x3f6eb680, v103, -v156
	v_mul_f32_e32 v176, 0xbe3c28d5, v142
	v_dual_mul_f32 v184, 0x3f65296c, v50 :: v_dual_add_f32 v43, v45, v43
	v_fma_f32 v45, 0x3dbcf732, v101, -v157
	v_add_f32_e32 v41, v44, v41
	v_dual_mul_f32 v186, 0xbf7ee86f, v53 :: v_dual_mul_f32 v187, 0xbf7ee86f, v52
	s_delay_alu instid0(VALU_DEP_4) | instskip(NEXT) | instid1(VALU_DEP_4)
	v_fmamk_f32 v185, v73, 0x3ee437d1, v184
	v_add_f32_e32 v43, v45, v43
	v_fmamk_f32 v45, v102, 0x3f6eb680, v153
	v_mul_f32_e32 v188, 0x3f4c4adb, v95
	v_mul_f32_e32 v178, 0x3f65296c, v145
	s_delay_alu instid0(VALU_DEP_4) | instskip(SKIP_2) | instid1(VALU_DEP_4)
	v_dual_mul_f32 v192, 0xbeb8f4ab, v129 :: v_dual_add_f32 v43, v47, v43
	v_fmamk_f32 v44, v100, 0x3dbcf732, v151
	v_fma_f32 v47, 0xbe8c1d8e, v73, -v172
	v_fma_f32 v191, 0x3ee437d1, v113, -v178
	s_delay_alu instid0(VALU_DEP_4)
	v_fmamk_f32 v195, v98, 0x3f6eb680, v192
	v_fma_f32 v181, 0xbf59a7d5, v70, -v179
	v_add_f32_e32 v44, v44, v41
	v_mul_f32_e32 v143, 0x3f2c7751, v145
	v_fmac_f32_e32 v179, 0xbf59a7d5, v70
	v_fma_f32 v184, 0x3ee437d1, v73, -v184
	v_mul_f32_e32 v182, 0x3f65296c, v51
	v_dual_mul_f32 v194, 0xbe3c28d5, v135 :: v_dual_mul_f32 v49, 0xbe3c28d5, v49
	v_fma_f32 v46, 0x3f3d2fb0, v113, -v143
	v_dual_add_f32 v179, v179, v4 :: v_dual_mul_f32 v50, 0x3eb8f4ab, v50
	s_clause 0x1
	s_load_b64 s[4:5], s[0:1], 0x20
	s_load_b64 s[2:3], s[0:1], 0x8
	global_wb scope:SCOPE_SE
	v_dual_add_f32 v41, v46, v42 :: v_dual_fmamk_f32 v46, v72, 0xbe8c1d8e, v169
	v_dual_mul_f32 v155, 0xbf4c4adb, v146 :: v_dual_add_f32 v42, v45, v44
	s_wait_kmcnt 0x0
	s_barrier_signal -1
	s_barrier_wait -1
	global_inv scope:SCOPE_SE
	v_fmamk_f32 v162, v112, 0xbf1a4643, v155
	v_mul_f32_e32 v171, 0xbf4c4adb, v48
	v_mul_f32_e32 v48, 0xbe3c28d5, v48
	;; [unrolled: 1-line block ×3, first 2 shown]
	s_delay_alu instid0(VALU_DEP_4) | instskip(NEXT) | instid1(VALU_DEP_4)
	v_dual_mul_f32 v53, 0xbf06c442, v53 :: v_dual_add_f32 v42, v162, v42
	v_fma_f32 v45, 0xbf1a4643, v71, -v171
	v_mul_f32_e32 v162, 0xbf4c4adb, v145
	v_mul_f32_e32 v95, 0x3f2c7751, v95
	;; [unrolled: 1-line block ×3, first 2 shown]
	s_delay_alu instid0(VALU_DEP_4) | instskip(NEXT) | instid1(VALU_DEP_4)
	v_add_f32_e32 v45, v45, v5
	v_fma_f32 v165, 0xbf1a4643, v113, -v162
	s_delay_alu instid0(VALU_DEP_2) | instskip(SKIP_1) | instid1(VALU_DEP_3)
	v_add_f32_e32 v45, v47, v45
	v_fma_f32 v47, 0x3f6eb680, v77, -v173
	v_add_f32_e32 v43, v165, v43
	v_mul_f32_e32 v165, 0x3f65296c, v146
	s_delay_alu instid0(VALU_DEP_3) | instskip(SKIP_1) | instid1(VALU_DEP_3)
	v_add_f32_e32 v45, v47, v45
	v_fma_f32 v47, 0xbf59a7d5, v76, -v174
	v_fmamk_f32 v189, v112, 0x3ee437d1, v165
	s_delay_alu instid0(VALU_DEP_2) | instskip(SKIP_1) | instid1(VALU_DEP_1)
	v_add_f32_e32 v45, v47, v45
	v_fma_f32 v47, 0x3dbcf732, v98, -v175
	v_add_f32_e32 v45, v47, v45
	v_fma_f32 v47, 0x3f3d2fb0, v101, -v177
	s_delay_alu instid0(VALU_DEP_1) | instskip(NEXT) | instid1(VALU_DEP_1)
	v_dual_fmamk_f32 v44, v70, 0xbf1a4643, v167 :: v_dual_add_f32 v45, v47, v45
	v_add_f32_e32 v44, v44, v4
	v_fma_f32 v47, 0xbf7ba420, v103, -v176
	s_delay_alu instid0(VALU_DEP_2) | instskip(SKIP_1) | instid1(VALU_DEP_3)
	v_add_f32_e32 v44, v46, v44
	v_fmamk_f32 v46, v75, 0x3f6eb680, v170
	v_add_f32_e32 v45, v47, v45
	v_add_f32_e32 v47, v185, v183
	v_fmamk_f32 v183, v77, 0x3dbcf732, v187
	v_mul_f32_e32 v166, 0xbf06c442, v121
	v_dual_add_f32 v44, v46, v44 :: v_dual_mul_f32 v185, 0x3f4c4adb, v121
	v_mul_f32_e32 v121, 0x3f2c7751, v121
	s_delay_alu instid0(VALU_DEP_4) | instskip(SKIP_1) | instid1(VALU_DEP_1)
	v_add_f32_e32 v47, v183, v47
	v_fmamk_f32 v183, v76, 0xbf1a4643, v188
	v_dual_fmamk_f32 v46, v78, 0xbf59a7d5, v166 :: v_dual_add_f32 v183, v183, v47
	s_delay_alu instid0(VALU_DEP_1) | instskip(SKIP_3) | instid1(VALU_DEP_3)
	v_add_f32_e32 v44, v46, v44
	v_dual_fmamk_f32 v46, v92, 0x3dbcf732, v168 :: v_dual_add_f32 v47, v191, v45
	v_fma_f32 v45, 0xbf7ba420, v100, -v194
	v_fmac_f32_e32 v194, 0xbf7ba420, v100
	v_add_f32_e32 v44, v46, v44
	v_fmamk_f32 v46, v100, 0x3f3d2fb0, v164
	s_delay_alu instid0(VALU_DEP_1) | instskip(SKIP_1) | instid1(VALU_DEP_1)
	v_add_f32_e32 v44, v46, v44
	v_fmamk_f32 v46, v102, 0xbf7ba420, v163
	v_add_f32_e32 v44, v46, v44
	v_add_f32_e32 v46, v181, v4
	v_fma_f32 v181, 0x3ee437d1, v72, -v182
	s_delay_alu instid0(VALU_DEP_1) | instskip(SKIP_2) | instid1(VALU_DEP_2)
	v_add_f32_e32 v46, v181, v46
	v_fma_f32 v181, 0x3dbcf732, v75, -v186
	v_fmac_f32_e32 v186, 0x3dbcf732, v75
	v_add_f32_e32 v46, v181, v46
	v_fma_f32 v181, 0xbf1a4643, v78, -v185
	v_fmac_f32_e32 v185, 0xbf1a4643, v78
	v_mul_f32_e32 v190, 0xbeb8f4ab, v130
	s_delay_alu instid0(VALU_DEP_3) | instskip(SKIP_1) | instid1(VALU_DEP_3)
	v_add_f32_e32 v181, v181, v46
	v_add_f32_e32 v46, v189, v44
	v_fma_f32 v193, 0x3f6eb680, v92, -v190
	s_delay_alu instid0(VALU_DEP_1) | instskip(SKIP_2) | instid1(VALU_DEP_3)
	v_dual_mul_f32 v189, 0x3f2c7751, v144 :: v_dual_add_f32 v44, v193, v181
	v_add_f32_e32 v181, v195, v183
	v_mul_f32_e32 v183, 0xbe3c28d5, v132
	v_fma_f32 v191, 0x3f3d2fb0, v102, -v189
	s_delay_alu instid0(VALU_DEP_4) | instskip(SKIP_1) | instid1(VALU_DEP_1)
	v_dual_fmac_f32 v189, 0x3f3d2fb0, v102 :: v_dual_add_f32 v44, v45, v44
	v_fma_f32 v45, 0xbf59a7d5, v71, -v180
	v_dual_mul_f32 v132, 0x3f65296c, v132 :: v_dual_add_f32 v45, v45, v5
	s_delay_alu instid0(VALU_DEP_1) | instskip(NEXT) | instid1(VALU_DEP_1)
	v_dual_add_f32 v45, v184, v45 :: v_dual_fmac_f32 v182, 0x3ee437d1, v72
	v_add_f32_e32 v179, v182, v179
	v_fma_f32 v182, 0x3dbcf732, v77, -v187
	v_dual_mul_f32 v187, 0xbf763a35, v146 :: v_dual_add_f32 v44, v191, v44
	v_mul_f32_e32 v191, 0xbf763a35, v145
	s_delay_alu instid0(VALU_DEP_4) | instskip(NEXT) | instid1(VALU_DEP_4)
	v_add_f32_e32 v179, v186, v179
	v_add_f32_e32 v45, v182, v45
	v_fma_f32 v182, 0xbf1a4643, v76, -v188
	s_delay_alu instid0(VALU_DEP_4) | instskip(NEXT) | instid1(VALU_DEP_4)
	v_fmamk_f32 v186, v113, 0xbe8c1d8e, v191
	v_dual_add_f32 v179, v185, v179 :: v_dual_fmac_f32 v190, 0x3f6eb680, v92
	v_fmamk_f32 v180, v101, 0xbf7ba420, v183
	s_delay_alu instid0(VALU_DEP_4) | instskip(NEXT) | instid1(VALU_DEP_2)
	v_add_f32_e32 v182, v182, v45
	v_dual_add_f32 v179, v190, v179 :: v_dual_add_f32 v180, v180, v181
	v_mul_f32_e32 v181, 0x3f2c7751, v142
	s_delay_alu instid0(VALU_DEP_1) | instskip(SKIP_1) | instid1(VALU_DEP_2)
	v_dual_add_f32 v179, v194, v179 :: v_dual_fmamk_f32 v184, v103, 0x3f3d2fb0, v181
	v_fma_f32 v181, 0x3f3d2fb0, v103, -v181
	v_dual_add_f32 v179, v189, v179 :: v_dual_add_f32 v180, v184, v180
	v_fma_f32 v184, 0xbe8c1d8e, v112, -v187
	v_fmac_f32_e32 v187, 0xbe8c1d8e, v112
	s_delay_alu instid0(VALU_DEP_3) | instskip(SKIP_1) | instid1(VALU_DEP_4)
	v_add_f32_e32 v45, v186, v180
	v_fma_f32 v185, 0x3f6eb680, v98, -v192
	v_add_f32_e32 v44, v184, v44
	s_delay_alu instid0(VALU_DEP_2) | instskip(SKIP_4) | instid1(VALU_DEP_4)
	v_add_f32_e32 v180, v185, v182
	v_fma_f32 v182, 0xbf7ba420, v101, -v183
	v_fma_f32 v183, 0xbf7ba420, v70, -v49
	v_dual_fmac_f32 v49, 0xbf7ba420, v70 :: v_dual_fmamk_f32 v184, v71, 0xbf7ba420, v48
	v_fma_f32 v185, 0xbf59a7d5, v75, -v53
	v_add_f32_e32 v180, v182, v180
	s_delay_alu instid0(VALU_DEP_4)
	v_add_f32_e32 v182, v183, v4
	v_fma_f32 v183, 0x3f6eb680, v72, -v51
	v_add_f32_e32 v49, v49, v4
	v_fmac_f32_e32 v51, 0x3f6eb680, v72
	v_mul_f32_e32 v52, 0xbf06c442, v52
	v_add_f32_e32 v180, v181, v180
	v_dual_add_f32 v182, v183, v182 :: v_dual_add_f32 v183, v184, v5
	s_delay_alu instid0(VALU_DEP_4) | instskip(NEXT) | instid1(VALU_DEP_2)
	v_dual_fmamk_f32 v184, v73, 0x3f6eb680, v50 :: v_dual_add_f32 v49, v51, v49
	v_dual_fmac_f32 v53, 0xbf59a7d5, v75 :: v_dual_add_f32 v182, v185, v182
	v_fma_f32 v185, 0x3f3d2fb0, v78, -v121
	s_delay_alu instid0(VALU_DEP_3) | instskip(NEXT) | instid1(VALU_DEP_3)
	v_dual_add_f32 v183, v184, v183 :: v_dual_fmamk_f32 v184, v77, 0xbf59a7d5, v52
	v_dual_mul_f32 v130, 0xbf4c4adb, v130 :: v_dual_add_f32 v49, v53, v49
	s_delay_alu instid0(VALU_DEP_3) | instskip(NEXT) | instid1(VALU_DEP_3)
	v_dual_add_f32 v182, v185, v182 :: v_dual_mul_f32 v51, 0x3f65296c, v135
	v_add_f32_e32 v181, v184, v183
	v_fmamk_f32 v183, v76, 0x3f3d2fb0, v95
	v_fma_f32 v52, 0xbf59a7d5, v77, -v52
	v_fmac_f32_e32 v121, 0x3f3d2fb0, v78
	v_fma_f32 v53, 0x3ee437d1, v100, -v51
	v_fmac_f32_e32 v51, 0x3ee437d1, v100
	v_add_f32_e32 v181, v183, v181
	v_fma_f32 v183, 0xbf1a4643, v92, -v130
	v_fma_f32 v48, 0xbf7ba420, v71, -v48
	v_dual_add_f32 v49, v121, v49 :: v_dual_fmac_f32 v130, 0xbf1a4643, v92
	v_mul_f32_e32 v121, 0xbf763a35, v142
	s_delay_alu instid0(VALU_DEP_4)
	v_add_f32_e32 v182, v183, v182
	v_fmamk_f32 v184, v98, 0xbf1a4643, v129
	v_add_f32_e32 v48, v48, v5
	v_add_f32_e32 v49, v130, v49
	v_fma_f32 v135, 0xbe8c1d8e, v113, -v191
	v_add_f32_e32 v53, v53, v182
	v_add_f32_e32 v181, v184, v181
	v_fma_f32 v50, 0x3f6eb680, v73, -v50
	v_dual_mul_f32 v144, 0xbf763a35, v144 :: v_dual_add_f32 v49, v51, v49
	v_fma_f32 v51, 0xbe8c1d8e, v103, -v121
	s_delay_alu instid0(VALU_DEP_3) | instskip(SKIP_1) | instid1(VALU_DEP_4)
	v_add_f32_e32 v50, v50, v48
	v_add_f32_e32 v48, v187, v179
	v_fma_f32 v179, 0xbe8c1d8e, v102, -v144
	s_delay_alu instid0(VALU_DEP_3) | instskip(SKIP_2) | instid1(VALU_DEP_4)
	v_add_f32_e32 v50, v52, v50
	v_fma_f32 v52, 0x3f3d2fb0, v76, -v95
	v_fmamk_f32 v95, v101, 0x3ee437d1, v132
	v_dual_add_f32 v53, v179, v53 :: v_dual_fmac_f32 v144, 0xbe8c1d8e, v102
	s_delay_alu instid0(VALU_DEP_3) | instskip(SKIP_1) | instid1(VALU_DEP_4)
	v_add_f32_e32 v50, v52, v50
	v_fma_f32 v52, 0xbf1a4643, v98, -v129
	v_add_f32_e32 v95, v95, v181
	v_fmamk_f32 v129, v103, 0xbe8c1d8e, v121
	v_mul_f32_e32 v130, 0x3f7ee86f, v146
	s_delay_alu instid0(VALU_DEP_4) | instskip(SKIP_1) | instid1(VALU_DEP_4)
	v_add_f32_e32 v50, v52, v50
	v_fma_f32 v52, 0x3ee437d1, v101, -v132
	v_add_f32_e32 v95, v129, v95
	v_add_f32_e32 v129, v144, v49
	s_delay_alu instid0(VALU_DEP_3) | instskip(SKIP_2) | instid1(VALU_DEP_3)
	v_dual_add_f32 v49, v135, v180 :: v_dual_add_f32 v50, v52, v50
	v_mul_f32_e32 v132, 0x3f7ee86f, v145
	v_fma_f32 v52, 0x3dbcf732, v112, -v130
	v_dual_fmac_f32 v130, 0x3dbcf732, v112 :: v_dual_add_f32 v51, v51, v50
	s_delay_alu instid0(VALU_DEP_3) | instskip(SKIP_1) | instid1(VALU_DEP_4)
	v_fmamk_f32 v121, v113, 0x3dbcf732, v132
	v_fma_f32 v132, 0x3dbcf732, v113, -v132
	v_add_f32_e32 v52, v52, v53
	s_delay_alu instid0(VALU_DEP_3) | instskip(NEXT) | instid1(VALU_DEP_3)
	v_dual_add_f32 v50, v130, v129 :: v_dual_add_f32 v53, v121, v95
	v_add_f32_e32 v51, v132, v51
	v_mul_lo_u16 v95, v94, 17
	s_and_saveexec_b32 s0, vcc_lo
	s_cbranch_execz .LBB0_7
; %bb.6:
	v_mul_f32_e32 v121, 0x3f6eb680, v70
	v_dual_mul_f32 v129, 0x3f6eb680, v71 :: v_dual_mul_f32 v206, 0x3f6eb680, v78
	v_dual_mul_f32 v130, 0x3f3d2fb0, v70 :: v_dual_mul_f32 v181, 0x3f3d2fb0, v73
	;; [unrolled: 1-line block ×7, first 2 shown]
	v_mul_f32_e32 v180, 0x3f3d2fb0, v72
	v_dual_mul_f32 v182, 0x3dbcf732, v72 :: v_dual_mul_f32 v183, 0x3dbcf732, v73
	v_dual_mul_f32 v184, 0xbf1a4643, v72 :: v_dual_mul_f32 v185, 0xbf1a4643, v73
	;; [unrolled: 1-line block ×5, first 2 shown]
	v_add_f32_e32 v71, v171, v71
	v_dual_mul_f32 v190, 0x3ee437d1, v75 :: v_dual_mul_f32 v191, 0x3ee437d1, v77
	v_dual_mul_f32 v192, 0xbf1a4643, v75 :: v_dual_mul_f32 v193, 0xbf1a4643, v77
	;; [unrolled: 1-line block ×4, first 2 shown]
	v_dual_mul_f32 v198, 0x3f3d2fb0, v75 :: v_dual_add_f32 v71, v71, v5
	v_dual_mul_f32 v200, 0x3dbcf732, v78 :: v_dual_mul_f32 v201, 0x3dbcf732, v76
	v_dual_mul_f32 v202, 0xbf7ba420, v78 :: v_dual_mul_f32 v203, 0xbf7ba420, v76
	;; [unrolled: 1-line block ×4, first 2 shown]
	v_dual_mul_f32 v78, 0xbf59a7d5, v78 :: v_dual_add_f32 v73, v172, v73
	v_dual_sub_f32 v70, v70, v167 :: v_dual_mul_f32 v77, 0x3f6eb680, v77
	v_dual_mul_f32 v171, 0x3f6eb680, v76 :: v_dual_sub_f32 v72, v72, v169
	s_delay_alu instid0(VALU_DEP_3) | instskip(NEXT) | instid1(VALU_DEP_3)
	v_dual_mul_f32 v76, 0xbf59a7d5, v76 :: v_dual_add_f32 v71, v73, v71
	v_add_f32_e32 v70, v70, v4
	s_delay_alu instid0(VALU_DEP_4) | instskip(SKIP_3) | instid1(VALU_DEP_4)
	v_dual_mul_f32 v210, 0xbf59a7d5, v92 :: v_dual_add_f32 v73, v173, v77
	v_mul_f32_e32 v212, 0x3ee437d1, v92
	v_mul_f32_e32 v211, 0x3f3d2fb0, v92
	v_dual_mul_f32 v172, 0xbe8c1d8e, v92 :: v_dual_mul_f32 v209, 0xbe8c1d8e, v98
	v_add_f32_e32 v71, v73, v71
	v_dual_add_f32 v73, v174, v76 :: v_dual_mul_f32 v76, 0x3dbcf732, v98
	v_mul_f32_e32 v174, 0x3ee437d1, v98
	v_mul_f32_e32 v213, 0xbf7ba420, v92
	s_delay_alu instid0(VALU_DEP_3) | instskip(NEXT) | instid1(VALU_DEP_4)
	v_dual_mul_f32 v214, 0xbf1a4643, v101 :: v_dual_add_f32 v71, v73, v71
	v_dual_add_f32 v73, v175, v76 :: v_dual_mul_f32 v76, 0x3f3d2fb0, v101
	v_mul_f32_e32 v92, 0x3dbcf732, v92
	v_dual_mul_f32 v175, 0xbf1a4643, v100 :: v_dual_add_f32 v70, v72, v70
	s_delay_alu instid0(VALU_DEP_3) | instskip(NEXT) | instid1(VALU_DEP_4)
	v_add_f32_e32 v71, v73, v71
	v_dual_add_f32 v73, v177, v76 :: v_dual_mul_f32 v72, 0x3ee437d1, v113
	v_mul_f32_e32 v177, 0xbf7ba420, v103
	v_dual_mul_f32 v169, 0x3f6eb680, v101 :: v_dual_sub_f32 v78, v78, v166
	s_delay_alu instid0(VALU_DEP_3) | instskip(NEXT) | instid1(VALU_DEP_3)
	v_dual_add_f32 v71, v73, v71 :: v_dual_add_f32 v72, v178, v72
	v_dual_mul_f32 v75, 0x3f6eb680, v75 :: v_dual_add_f32 v176, v176, v177
	v_mul_f32_e32 v166, 0x3ee437d1, v103
	v_dual_mul_f32 v215, 0xbf59a7d5, v103 :: v_dual_add_f32 v160, v160, v189
	s_delay_alu instid0(VALU_DEP_3)
	v_sub_f32_e32 v75, v75, v170
	v_mul_f32_e32 v73, 0x3f6eb680, v100
	v_sub_f32_e32 v92, v92, v168
	v_mul_f32_e32 v170, 0x3dbcf732, v100
	v_mul_f32_e32 v168, 0xbf1a4643, v102
	v_add_f32_e32 v70, v75, v70
	v_add_f32_e32 v75, v159, v179
	;; [unrolled: 1-line block ×3, first 2 shown]
	v_dual_mul_f32 v177, 0xbf59a7d5, v100 :: v_dual_mul_f32 v178, 0xbf59a7d5, v102
	s_delay_alu instid0(VALU_DEP_3) | instskip(SKIP_3) | instid1(VALU_DEP_4)
	v_dual_add_f32 v70, v78, v70 :: v_dual_add_f32 v75, v75, v5
	v_add_f32_e32 v161, v161, v199
	v_dual_mul_f32 v179, 0x3dbcf732, v102 :: v_dual_sub_f32 v148, v188, v148
	v_mul_f32_e32 v189, 0x3f6eb680, v102
	v_add_f32_e32 v75, v160, v75
	v_add_f32_e32 v92, v92, v70
	v_mul_f32_e32 v159, 0x3ee437d1, v102
	v_mul_f32_e32 v102, 0xbf7ba420, v102
	s_delay_alu instid0(VALU_DEP_4) | instskip(SKIP_3) | instid1(VALU_DEP_3)
	v_dual_mul_f32 v77, 0x3f3d2fb0, v98 :: v_dual_add_f32 v70, v161, v75
	v_dual_sub_f32 v75, v146, v147 :: v_dual_mul_f32 v188, 0xbf59a7d5, v112
	v_dual_mul_f32 v76, 0xbe8c1d8e, v100 :: v_dual_mul_f32 v167, 0xbe8c1d8e, v101
	v_mul_f32_e32 v100, 0x3f3d2fb0, v100
	v_add_f32_e32 v75, v75, v4
	v_dual_mul_f32 v173, 0xbf59a7d5, v98 :: v_dual_mul_f32 v176, 0xbf59a7d5, v101
	v_mul_f32_e32 v98, 0xbf7ba420, v98
	v_dual_mul_f32 v160, 0xbf1a4643, v103 :: v_dual_add_f32 v147, v158, v208
	v_dual_mul_f32 v161, 0xbf7ba420, v113 :: v_dual_sub_f32 v100, v100, v164
	v_dual_mul_f32 v164, 0xbf59a7d5, v113 :: v_dual_add_f32 v75, v148, v75
	v_mul_f32_e32 v148, 0x3f3d2fb0, v113
	v_dual_sub_f32 v149, v198, v149 :: v_dual_mul_f32 v198, 0xbf1a4643, v112
	v_dual_mul_f32 v101, 0x3dbcf732, v101 :: v_dual_mul_f32 v78, 0x3dbcf732, v103
	v_dual_mul_f32 v103, 0x3f6eb680, v103 :: v_dual_mul_f32 v158, 0x3f6eb680, v113
	v_mul_f32_e32 v199, 0xbf7ba420, v112
	v_dual_mul_f32 v146, 0x3f6eb680, v112 :: v_dual_add_f32 v147, v147, v70
	v_mul_f32_e32 v208, 0x3f3d2fb0, v112
	v_mul_f32_e32 v113, 0xbf1a4643, v113
	;; [unrolled: 1-line block ×3, first 2 shown]
	v_dual_add_f32 v70, v72, v71 :: v_dual_add_f32 v71, v154, v98
	v_dual_add_f32 v72, v149, v75 :: v_dual_sub_f32 v75, v207, v150
	v_add_f32_e32 v92, v100, v92
	v_sub_f32_e32 v98, v102, v163
	s_delay_alu instid0(VALU_DEP_4) | instskip(NEXT) | instid1(VALU_DEP_4)
	v_dual_add_f32 v71, v71, v147 :: v_dual_add_f32 v100, v157, v101
	v_add_f32_e32 v72, v75, v72
	v_sub_f32_e32 v75, v213, v152
	s_delay_alu instid0(VALU_DEP_4) | instskip(NEXT) | instid1(VALU_DEP_4)
	v_dual_add_f32 v92, v98, v92 :: v_dual_add_f32 v101, v139, v187
	v_dual_add_f32 v71, v100, v71 :: v_dual_sub_f32 v102, v189, v153
	s_delay_alu instid0(VALU_DEP_3)
	v_dual_add_f32 v72, v75, v72 :: v_dual_sub_f32 v75, v170, v151
	v_add_f32_e32 v100, v156, v103
	v_sub_f32_e32 v103, v112, v165
	v_add_f32_e32 v77, v119, v77
	v_sub_f32_e32 v109, v184, v109
	v_dual_add_f32 v75, v75, v72 :: v_dual_add_f32 v98, v138, v145
	v_add_f32_e32 v71, v100, v71
	v_sub_f32_e32 v112, v144, v125
	v_add_f32_e32 v90, v90, v193
	v_add_f32_e32 v78, v120, v78
	v_dual_add_f32 v98, v98, v5 :: v_dual_add_f32 v61, v61, v132
	v_dual_sub_f32 v73, v73, v106 :: v_dual_add_f32 v96, v96, v183
	v_dual_sub_f32 v82, v182, v82 :: v_dual_add_f32 v7, v7, v5
	s_delay_alu instid0(VALU_DEP_3)
	v_add_f32_e32 v98, v101, v98
	v_add_f32_e32 v101, v141, v197
	;; [unrolled: 1-line block ×4, first 2 shown]
	v_dual_add_f32 v61, v61, v5 :: v_dual_sub_f32 v58, v130, v58
	v_add_f32_e32 v6, v6, v4
	s_delay_alu instid0(VALU_DEP_4)
	v_add_f32_e32 v72, v100, v71
	v_add_f32_e32 v71, v102, v75
	v_dual_add_f32 v75, v101, v98 :: v_dual_add_f32 v98, v136, v171
	v_dual_add_f32 v100, v112, v4 :: v_dual_sub_f32 v101, v186, v126
	v_dual_sub_f32 v102, v198, v155 :: v_dual_add_f32 v61, v96, v61
	v_dual_add_f32 v58, v58, v4 :: v_dual_add_f32 v81, v81, v166
	s_delay_alu instid0(VALU_DEP_3) | instskip(NEXT) | instid1(VALU_DEP_3)
	v_dual_add_f32 v100, v101, v100 :: v_dual_sub_f32 v101, v196, v123
	v_dual_add_f32 v71, v102, v71 :: v_dual_add_f32 v102, v143, v148
	s_delay_alu instid0(VALU_DEP_4) | instskip(NEXT) | instid1(VALU_DEP_3)
	v_dual_add_f32 v61, v90, v61 :: v_dual_add_f32 v90, v91, v203
	v_add_f32_e32 v100, v101, v100
	v_sub_f32_e32 v101, v206, v124
	v_dual_add_f32 v75, v98, v75 :: v_dual_add_f32 v98, v133, v174
	v_dual_add_f32 v58, v82, v58 :: v_dual_add_f32 v7, v21, v7
	s_delay_alu instid0(VALU_DEP_3) | instskip(NEXT) | instid1(VALU_DEP_3)
	v_dual_add_f32 v100, v101, v100 :: v_dual_sub_f32 v101, v212, v127
	v_dual_add_f32 v112, v115, v142 :: v_dual_add_f32 v75, v98, v75
	v_add_f32_e32 v98, v134, v176
	v_dual_sub_f32 v82, v192, v83 :: v_dual_add_f32 v61, v90, v61
	s_delay_alu instid0(VALU_DEP_3) | instskip(SKIP_1) | instid1(VALU_DEP_4)
	v_add_f32_e32 v112, v112, v5
	v_add_f32_e32 v83, v97, v173
	v_dual_add_f32 v75, v98, v75 :: v_dual_add_f32 v98, v137, v160
	s_delay_alu instid0(VALU_DEP_3) | instskip(SKIP_1) | instid1(VALU_DEP_4)
	v_dual_add_f32 v7, v23, v7 :: v_dual_add_f32 v112, v113, v112
	v_add_f32_e32 v113, v117, v195
	v_add_f32_e32 v61, v83, v61
	s_delay_alu instid0(VALU_DEP_4) | instskip(SKIP_1) | instid1(VALU_DEP_4)
	v_dual_add_f32 v75, v98, v75 :: v_dual_add_f32 v98, v101, v100
	v_sub_f32_e32 v100, v177, v131
	v_dual_add_f32 v112, v113, v112 :: v_dual_add_f32 v113, v118, v205
	s_delay_alu instid0(VALU_DEP_3) | instskip(SKIP_2) | instid1(VALU_DEP_4)
	v_dual_add_f32 v75, v102, v75 :: v_dual_sub_f32 v102, v208, v140
	v_add_f32_e32 v83, v99, v167
	v_add_f32_e32 v7, v29, v7
	v_dual_add_f32 v101, v113, v112 :: v_dual_add_f32 v6, v20, v6
	s_delay_alu instid0(VALU_DEP_3) | instskip(NEXT) | instid1(VALU_DEP_3)
	v_add_f32_e32 v61, v83, v61
	v_add_f32_e32 v7, v31, v7
	s_delay_alu instid0(VALU_DEP_3) | instskip(SKIP_1) | instid1(VALU_DEP_4)
	v_add_f32_e32 v77, v77, v101
	v_dual_add_f32 v101, v114, v169 :: v_dual_sub_f32 v108, v135, v108
	v_dual_add_f32 v21, v81, v61 :: v_dual_add_f32 v58, v82, v58
	v_dual_sub_f32 v82, v202, v88 :: v_dual_add_f32 v61, v87, v158
	s_delay_alu instid0(VALU_DEP_3) | instskip(SKIP_3) | instid1(VALU_DEP_4)
	v_add_f32_e32 v77, v101, v77
	v_sub_f32_e32 v101, v194, v110
	v_add_f32_e32 v98, v100, v98
	v_sub_f32_e32 v100, v168, v128
	v_dual_add_f32 v108, v108, v4 :: v_dual_add_f32 v77, v78, v77
	v_add_f32_e32 v78, v122, v164
	v_add_f32_e32 v58, v82, v58
	s_delay_alu instid0(VALU_DEP_4) | instskip(NEXT) | instid1(VALU_DEP_4)
	v_add_f32_e32 v98, v100, v98
	v_add_f32_e32 v100, v109, v108
	v_sub_f32_e32 v82, v210, v89
	v_add_f32_e32 v77, v78, v77
	v_dual_add_f32 v7, v33, v7 :: v_dual_sub_f32 v20, v76, v74
	s_delay_alu instid0(VALU_DEP_4) | instskip(NEXT) | instid1(VALU_DEP_4)
	v_add_f32_e32 v100, v101, v100
	v_dual_sub_f32 v101, v204, v104 :: v_dual_add_f32 v58, v82, v58
	s_delay_alu instid0(VALU_DEP_3) | instskip(SKIP_1) | instid1(VALU_DEP_3)
	v_dual_add_f32 v7, v35, v7 :: v_dual_add_f32 v6, v22, v6
	v_sub_f32_e32 v22, v159, v79
	v_add_f32_e32 v78, v101, v100
	v_sub_f32_e32 v100, v211, v105
	s_delay_alu instid0(VALU_DEP_4) | instskip(SKIP_1) | instid1(VALU_DEP_3)
	v_dual_add_f32 v20, v20, v58 :: v_dual_add_f32 v7, v25, v7
	v_dual_add_f32 v23, v28, v6 :: v_dual_add_f32 v6, v61, v21
	v_dual_add_f32 v78, v100, v78 :: v_dual_add_f32 v21, v39, v129
	s_delay_alu instid0(VALU_DEP_3) | instskip(NEXT) | instid1(VALU_DEP_2)
	v_dual_add_f32 v7, v27, v7 :: v_dual_add_f32 v20, v22, v20
	v_dual_add_f32 v22, v30, v23 :: v_dual_add_f32 v73, v73, v78
	s_delay_alu instid0(VALU_DEP_3) | instskip(NEXT) | instid1(VALU_DEP_3)
	v_dual_sub_f32 v78, v179, v107 :: v_dual_add_f32 v5, v21, v5
	v_add_f32_e32 v7, v17, v7
	v_add_f32_e32 v17, v63, v209
	s_delay_alu instid0(VALU_DEP_4) | instskip(NEXT) | instid1(VALU_DEP_4)
	v_add_f32_e32 v21, v32, v22
	v_dual_add_f32 v73, v78, v73 :: v_dual_sub_f32 v78, v188, v111
	v_add_f32_e32 v22, v55, v181
	v_add_f32_e32 v7, v19, v7
	s_delay_alu instid0(VALU_DEP_4) | instskip(SKIP_2) | instid1(VALU_DEP_4)
	v_add_f32_e32 v21, v34, v21
	v_sub_f32_e32 v23, v146, v80
	v_add_f32_e32 v76, v78, v73
	v_dual_add_f32 v74, v102, v98 :: v_dual_add_f32 v7, v13, v7
	s_delay_alu instid0(VALU_DEP_4) | instskip(SKIP_1) | instid1(VALU_DEP_3)
	v_dual_add_f32 v21, v24, v21 :: v_dual_sub_f32 v24, v190, v56
	v_sub_f32_e32 v13, v175, v64
	v_add_f32_e32 v7, v15, v7
	s_delay_alu instid0(VALU_DEP_3) | instskip(NEXT) | instid1(VALU_DEP_1)
	v_add_f32_e32 v21, v26, v21
	v_dual_add_f32 v7, v9, v7 :: v_dual_add_f32 v16, v16, v21
	v_sub_f32_e32 v21, v172, v62
	v_dual_sub_f32 v28, v121, v38 :: v_dual_add_f32 v5, v22, v5
	v_add_f32_e32 v22, v57, v191
	s_delay_alu instid0(VALU_DEP_4) | instskip(NEXT) | instid1(VALU_DEP_3)
	v_dual_add_f32 v16, v18, v16 :: v_dual_add_f32 v9, v69, v161
	v_dual_add_f32 v4, v28, v4 :: v_dual_add_f32 v11, v11, v7
	s_delay_alu instid0(VALU_DEP_3) | instskip(SKIP_4) | instid1(VALU_DEP_3)
	v_add_f32_e32 v5, v22, v5
	v_add_f32_e32 v22, v60, v201
	v_sub_f32_e32 v28, v180, v54
	v_add_f32_e32 v12, v12, v16
	v_add_f32_e32 v69, v103, v92
	v_dual_add_f32 v5, v22, v5 :: v_dual_add_f32 v4, v28, v4
	s_delay_alu instid0(VALU_DEP_1) | instskip(SKIP_1) | instid1(VALU_DEP_1)
	v_dual_add_f32 v5, v17, v5 :: v_dual_add_f32 v4, v24, v4
	v_dual_add_f32 v17, v65, v214 :: v_dual_sub_f32 v24, v200, v59
	v_dual_add_f32 v5, v17, v5 :: v_dual_add_f32 v4, v24, v4
	v_add_f32_e32 v12, v14, v12
	s_delay_alu instid0(VALU_DEP_2) | instskip(NEXT) | instid1(VALU_DEP_2)
	v_add_f32_e32 v4, v21, v4
	v_add_f32_e32 v8, v8, v12
	;; [unrolled: 1-line block ×3, first 2 shown]
	v_sub_f32_e32 v12, v199, v68
	s_delay_alu instid0(VALU_DEP_4) | instskip(NEXT) | instid1(VALU_DEP_1)
	v_dual_add_f32 v4, v13, v4 :: v_dual_sub_f32 v13, v178, v66
	v_add_f32_e32 v4, v13, v4
	v_add_f32_e32 v13, v10, v8
	v_dual_add_f32 v5, v16, v5 :: v_dual_add_f32 v10, v37, v11
	s_delay_alu instid0(VALU_DEP_1) | instskip(NEXT) | instid1(VALU_DEP_3)
	v_dual_add_f32 v8, v9, v5 :: v_dual_add_f32 v5, v23, v20
	v_dual_add_f32 v9, v36, v13 :: v_dual_and_b32 v14, 0xffff, v95
	s_delay_alu instid0(VALU_DEP_1)
	v_dual_add_f32 v7, v12, v4 :: v_dual_lshlrev_b32 v4, 3, v14
	ds_store_2addr_b64 v4, v[9:10], v[7:8] offset1:1
	ds_store_2addr_b64 v4, v[5:6], v[76:77] offset0:2 offset1:3
	ds_store_2addr_b64 v4, v[74:75], v[71:72] offset0:4 offset1:5
	;; [unrolled: 1-line block ×7, first 2 shown]
	ds_store_b64 v4, v[85:86] offset:128
.LBB0_7:
	s_wait_alu 0xfffe
	s_or_b32 exec_lo, exec_lo, s0
	v_add_nc_u32_e32 v4, 0x800, v93
	v_add_nc_u32_e32 v5, 0x1000, v93
	global_wb scope:SCOPE_SE
	s_wait_dscnt 0x0
	s_barrier_signal -1
	s_barrier_wait -1
	global_inv scope:SCOPE_SE
	ds_load_2addr_b64 v[28:31], v93 offset1:153
	ds_load_2addr_b64 v[36:39], v4 offset0:50 offset1:203
	ds_load_2addr_b64 v[32:35], v5 offset0:100 offset1:253
	ds_load_b64 v[54:55], v93 offset:7344
	v_cmp_gt_u16_e64 s0, 34, v94
	s_delay_alu instid0(VALU_DEP_1)
	s_and_saveexec_b32 s1, s0
	s_cbranch_execz .LBB0_9
; %bb.8:
	v_add_nc_u32_e32 v4, 0xc00, v93
	v_add_nc_u32_e32 v8, 0x1400, v93
	ds_load_2addr_b64 v[4:7], v4 offset0:41 offset1:194
	ds_load_2addr_b64 v[8:11], v8 offset0:91 offset1:244
	v_add_nc_u32_e32 v12, 0x200, v93
	s_wait_dscnt 0x1
	v_dual_mov_b32 v48, v6 :: v_dual_mov_b32 v51, v5
	s_wait_dscnt 0x0
	v_mov_b32_e32 v47, v9
	ds_load_2addr_b64 v[12:15], v12 offset0:55 offset1:208
	ds_load_b64 v[40:41], v93 offset:8296
	v_dual_mov_b32 v49, v7 :: v_dual_mov_b32 v42, v10
	v_dual_mov_b32 v43, v11 :: v_dual_mov_b32 v46, v8
	s_wait_dscnt 0x1
	v_dual_mov_b32 v50, v4 :: v_dual_mov_b32 v45, v13
	v_dual_mov_b32 v52, v14 :: v_dual_mov_b32 v53, v15
	v_mov_b32_e32 v44, v12
.LBB0_9:
	s_wait_alu 0xfffe
	s_or_b32 exec_lo, exec_lo, s1
	v_and_b32_e32 v4, 0xff, v94
	v_add_nc_u16 v5, v94, 0x77
	s_delay_alu instid0(VALU_DEP_2) | instskip(NEXT) | instid1(VALU_DEP_2)
	v_mul_lo_u16 v4, 0xf1, v4
	v_and_b32_e32 v6, 0xff, v5
	s_delay_alu instid0(VALU_DEP_2) | instskip(NEXT) | instid1(VALU_DEP_1)
	v_lshrrev_b16 v56, 12, v4
	v_mul_lo_u16 v4, v56, 17
	s_delay_alu instid0(VALU_DEP_1) | instskip(NEXT) | instid1(VALU_DEP_1)
	v_sub_nc_u16 v4, v94, v4
	v_and_b32_e32 v57, 0xff, v4
	v_mul_lo_u16 v4, 0xf1, v6
	s_delay_alu instid0(VALU_DEP_2) | instskip(NEXT) | instid1(VALU_DEP_2)
	v_mul_u32_u24_e32 v6, 6, v57
	v_lshrrev_b16 v58, 12, v4
	s_delay_alu instid0(VALU_DEP_2) | instskip(NEXT) | instid1(VALU_DEP_2)
	v_lshlrev_b32_e32 v4, 3, v6
	v_mul_lo_u16 v6, v58, 17
	s_clause 0x1
	global_load_b128 v[24:27], v4, s[2:3]
	global_load_b128 v[20:23], v4, s[2:3] offset:16
	v_sub_nc_u16 v5, v5, v6
	v_and_b32_e32 v98, 0xffff, v58
	s_wait_loadcnt_dscnt 0x102
	s_delay_alu instid0(VALU_DEP_2)
	v_dual_mul_f32 v59, v37, v27 :: v_dual_and_b32 v96, 0xff, v5
	s_wait_loadcnt_dscnt 0x1
	v_mul_f32_e32 v63, v33, v23
	v_mul_f32_e32 v61, v39, v21
	global_load_b128 v[16:19], v4, s[2:3] offset:32
	v_mul_u32_u24_e32 v4, 6, v96
	v_and_b32_e32 v56, 0xffff, v56
	s_wait_loadcnt 0x0
	s_delay_alu instid0(VALU_DEP_2)
	v_dual_mul_f32 v65, v35, v17 :: v_dual_lshlrev_b32 v12, 3, v4
	s_clause 0x2
	global_load_b128 v[8:11], v12, s[2:3]
	global_load_b128 v[4:7], v12, s[2:3] offset:16
	global_load_b128 v[12:15], v12, s[2:3] offset:32
	s_wait_dscnt 0x0
	v_mul_f32_e32 v67, v55, v19
	v_mul_u32_u24_e32 v56, 0x77, v56
	v_mul_f32_e32 v64, v32, v23
	v_mul_f32_e32 v66, v34, v17
	;; [unrolled: 1-line block ×4, first 2 shown]
	v_add_lshl_u32 v97, v56, v57, 3
	v_mul_f32_e32 v56, v31, v25
	v_dual_mul_f32 v57, v30, v25 :: v_dual_mul_f32 v60, v36, v27
	v_fmac_f32_e32 v66, v35, v16
	v_fma_f32 v32, v32, v22, -v63
	s_delay_alu instid0(VALU_DEP_4) | instskip(NEXT) | instid1(VALU_DEP_4)
	v_fma_f32 v30, v30, v24, -v56
	v_fmac_f32_e32 v57, v31, v24
	v_fma_f32 v31, v36, v26, -v59
	v_fmac_f32_e32 v60, v37, v26
	v_fma_f32 v36, v38, v20, -v61
	s_load_b128 s[4:7], s[4:5], 0x0
	global_wb scope:SCOPE_SE
	s_wait_loadcnt 0x0
	s_wait_kmcnt 0x0
	s_barrier_signal -1
	s_barrier_wait -1
	global_inv scope:SCOPE_SE
	v_mul_f32_e32 v35, v53, v9
	v_dual_fmac_f32 v64, v33, v22 :: v_dual_mul_f32 v59, v46, v7
	v_fma_f32 v33, v34, v16, -v65
	v_fma_f32 v34, v54, v18, -v67
	v_mul_f32_e32 v37, v52, v9
	v_dual_mul_f32 v67, v40, v15 :: v_dual_fmac_f32 v68, v55, v18
	v_dual_mul_f32 v55, v48, v5 :: v_dual_mul_f32 v38, v51, v11
	s_delay_alu instid0(VALU_DEP_2)
	v_dual_mul_f32 v56, v47, v7 :: v_dual_fmac_f32 v67, v41, v14
	v_mul_f32_e32 v63, v42, v13
	v_dual_mul_f32 v65, v41, v15 :: v_dual_fmac_f32 v62, v39, v20
	v_dual_mul_f32 v39, v50, v11 :: v_dual_mul_f32 v54, v49, v5
	v_fmac_f32_e32 v37, v53, v8
	v_fmac_f32_e32 v59, v47, v6
	v_add_f32_e32 v41, v30, v34
	v_add_f32_e32 v47, v31, v33
	v_dual_mul_f32 v61, v43, v13 :: v_dual_sub_f32 v30, v30, v34
	v_fma_f32 v35, v52, v8, -v35
	v_fmac_f32_e32 v39, v51, v10
	v_fma_f32 v48, v48, v4, -v54
	v_fmac_f32_e32 v55, v49, v4
	;; [unrolled: 2-line block ×3, first 2 shown]
	v_add_f32_e32 v50, v36, v32
	v_sub_f32_e32 v32, v32, v36
	v_dual_sub_f32 v36, v64, v62 :: v_dual_add_f32 v43, v57, v68
	v_dual_add_f32 v52, v47, v41 :: v_dual_add_f32 v49, v60, v66
	v_sub_f32_e32 v54, v47, v41
	v_sub_f32_e32 v31, v31, v33
	v_fma_f32 v46, v46, v6, -v56
	v_fma_f32 v42, v42, v12, -v61
	v_sub_f32_e32 v56, v49, v43
	v_fma_f32 v40, v40, v14, -v65
	v_dual_sub_f32 v34, v57, v68 :: v_dual_sub_f32 v33, v60, v66
	v_add_f32_e32 v57, v32, v31
	v_dual_sub_f32 v61, v32, v31 :: v_dual_sub_f32 v32, v30, v32
	s_delay_alu instid0(VALU_DEP_3) | instskip(SKIP_2) | instid1(VALU_DEP_3)
	v_dual_add_f32 v51, v62, v64 :: v_dual_add_f32 v60, v36, v33
	v_dual_add_f32 v53, v49, v43 :: v_dual_sub_f32 v62, v36, v33
	v_dual_sub_f32 v41, v41, v50 :: v_dual_sub_f32 v36, v34, v36
	v_sub_f32_e32 v43, v43, v51
	v_dual_sub_f32 v47, v50, v47 :: v_dual_add_f32 v64, v35, v40
	v_sub_f32_e32 v49, v51, v49
	v_dual_sub_f32 v33, v33, v34 :: v_dual_add_f32 v66, v39, v63
	v_dual_sub_f32 v40, v35, v40 :: v_dual_add_f32 v35, v38, v42
	v_sub_f32_e32 v38, v38, v42
	v_add_f32_e32 v42, v48, v46
	v_dual_sub_f32 v31, v31, v30 :: v_dual_add_f32 v50, v50, v52
	v_dual_add_f32 v65, v37, v67 :: v_dual_add_f32 v52, v60, v34
	v_dual_sub_f32 v39, v39, v63 :: v_dual_add_f32 v30, v57, v30
	v_dual_add_f32 v63, v55, v59 :: v_dual_sub_f32 v46, v46, v48
	v_sub_f32_e32 v48, v59, v55
	v_sub_f32_e32 v37, v37, v67
	v_dual_add_f32 v51, v51, v53 :: v_dual_mul_f32 v60, 0x3f5ff5aa, v31
	v_dual_mul_f32 v41, 0x3f4a47b2, v41 :: v_dual_sub_f32 v68, v35, v64
	v_dual_mul_f32 v55, 0x3d64c772, v49 :: v_dual_sub_f32 v70, v42, v35
	v_dual_mul_f32 v57, 0xbf08b237, v61 :: v_dual_add_f32 v72, v48, v39
	v_dual_mul_f32 v59, 0xbf08b237, v62 :: v_dual_sub_f32 v74, v48, v39
	v_dual_add_f32 v62, v35, v64 :: v_dual_mul_f32 v61, 0x3f5ff5aa, v33
	v_sub_f32_e32 v48, v37, v48
	v_dual_sub_f32 v64, v64, v42 :: v_dual_mul_f32 v43, 0x3f4a47b2, v43
	v_mul_f32_e32 v53, 0x3d64c772, v47
	v_dual_add_f32 v67, v66, v65 :: v_dual_add_f32 v34, v28, v50
	v_dual_sub_f32 v69, v66, v65 :: v_dual_sub_f32 v66, v63, v66
	v_add_f32_e32 v71, v46, v38
	v_sub_f32_e32 v73, v46, v38
	v_sub_f32_e32 v39, v39, v37
	v_fmamk_f32 v49, v49, 0x3d64c772, v43
	v_fma_f32 v55, 0x3f3bfb3b, v56, -v55
	v_fma_f32 v43, 0xbf3bfb3b, v56, -v43
	v_dual_fmamk_f32 v56, v36, 0x3eae86e6, v59 :: v_dual_add_f32 v35, v29, v51
	v_fma_f32 v33, 0x3f5ff5aa, v33, -v59
	v_fma_f32 v59, 0xbeae86e6, v36, -v61
	v_dual_add_f32 v36, v42, v62 :: v_dual_sub_f32 v65, v65, v63
	v_sub_f32_e32 v38, v38, v40
	v_dual_sub_f32 v46, v40, v46 :: v_dual_fmamk_f32 v47, v47, 0x3d64c772, v41
	v_mul_f32_e32 v62, 0x3d64c772, v66
	v_fma_f32 v53, 0x3f3bfb3b, v54, -v53
	v_fma_f32 v41, 0xbf3bfb3b, v54, -v41
	v_fmamk_f32 v54, v32, 0x3eae86e6, v57
	v_fma_f32 v57, 0x3f5ff5aa, v31, -v57
	v_fma_f32 v32, 0xbeae86e6, v32, -v60
	v_add_f32_e32 v42, v63, v67
	v_add_f32_e32 v40, v71, v40
	v_dual_fmamk_f32 v50, v50, 0xbf955555, v34 :: v_dual_fmamk_f32 v51, v51, 0xbf955555, v35
	v_dual_add_f32 v28, v44, v36 :: v_dual_mul_f32 v63, 0xbf08b237, v73
	v_add_f32_e32 v37, v72, v37
	v_dual_mul_f32 v31, 0x3f4a47b2, v64 :: v_dual_mul_f32 v60, 0x3f4a47b2, v65
	v_mul_f32_e32 v64, 0xbf08b237, v74
	v_dual_fmac_f32 v54, 0x3ee1c552, v30 :: v_dual_fmac_f32 v33, 0x3ee1c552, v52
	v_dual_fmac_f32 v56, 0x3ee1c552, v52 :: v_dual_fmac_f32 v57, 0x3ee1c552, v30
	;; [unrolled: 1-line block ×3, first 2 shown]
	v_dual_add_f32 v29, v45, v42 :: v_dual_fmamk_f32 v30, v46, 0x3eae86e6, v63
	v_dual_mul_f32 v61, 0x3d64c772, v70 :: v_dual_fmamk_f32 v44, v70, 0x3d64c772, v31
	v_dual_mul_f32 v65, 0x3f5ff5aa, v38 :: v_dual_add_f32 v52, v55, v51
	v_mul_f32_e32 v67, 0x3f5ff5aa, v39
	s_delay_alu instid0(VALU_DEP_4)
	v_dual_add_f32 v47, v47, v50 :: v_dual_fmac_f32 v30, 0x3ee1c552, v40
	v_fmamk_f32 v45, v66, 0x3d64c772, v60
	v_fma_f32 v66, 0xbf3bfb3b, v68, -v31
	v_fmamk_f32 v31, v48, 0x3eae86e6, v64
	v_fma_f32 v64, 0x3f5ff5aa, v39, -v64
	v_fma_f32 v61, 0x3f3bfb3b, v68, -v61
	;; [unrolled: 1-line block ×6, first 2 shown]
	v_add_f32_e32 v48, v49, v51
	v_fma_f32 v63, 0x3f5ff5aa, v38, -v63
	v_dual_add_f32 v49, v53, v50 :: v_dual_fmac_f32 v64, 0x3ee1c552, v37
	v_dual_add_f32 v50, v41, v50 :: v_dual_add_f32 v51, v43, v51
	v_fmac_f32_e32 v46, 0x3ee1c552, v40
	v_fmamk_f32 v55, v36, 0xbf955555, v28
	s_delay_alu instid0(VALU_DEP_4)
	v_dual_fmamk_f32 v67, v42, 0xbf955555, v29 :: v_dual_add_f32 v42, v33, v49
	v_fmac_f32_e32 v63, 0x3ee1c552, v40
	v_dual_fmac_f32 v65, 0x3ee1c552, v37 :: v_dual_add_f32 v36, v56, v47
	v_sub_f32_e32 v56, v47, v56
	v_dual_add_f32 v38, v59, v50 :: v_dual_fmac_f32 v31, 0x3ee1c552, v37
	v_dual_sub_f32 v40, v49, v33 :: v_dual_sub_f32 v37, v48, v54
	v_sub_f32_e32 v39, v51, v32
	v_add_f32_e32 v41, v57, v52
	v_add_f32_e32 v53, v32, v51
	;; [unrolled: 1-line block ×3, first 2 shown]
	v_dual_add_f32 v44, v66, v55 :: v_dual_sub_f32 v43, v52, v57
	v_sub_f32_e32 v52, v50, v59
	v_add_f32_e32 v47, v60, v67
	v_add_f32_e32 v50, v61, v55
	;; [unrolled: 1-line block ×6, first 2 shown]
	v_dual_sub_f32 v44, v44, v65 :: v_dual_sub_f32 v55, v47, v46
	v_dual_sub_f32 v48, v50, v64 :: v_dual_add_f32 v49, v63, v51
	v_dual_add_f32 v50, v64, v50 :: v_dual_sub_f32 v51, v51, v63
	v_add_f32_e32 v45, v46, v47
	v_dual_sub_f32 v46, v32, v31 :: v_dual_add_f32 v47, v30, v33
	ds_store_2addr_b64 v97, v[34:35], v[36:37] offset1:17
	ds_store_2addr_b64 v97, v[38:39], v[40:41] offset0:34 offset1:51
	ds_store_2addr_b64 v97, v[42:43], v[52:53] offset0:68 offset1:85
	ds_store_b64 v97, v[56:57] offset:816
	s_and_saveexec_b32 s1, s0
	s_cbranch_execz .LBB0_11
; %bb.10:
	v_mul_u32_u24_e32 v34, 0x77, v98
	v_dual_sub_f32 v33, v33, v30 :: v_dual_add_f32 v32, v31, v32
	s_delay_alu instid0(VALU_DEP_2)
	v_add_lshl_u32 v30, v34, v96, 3
	ds_store_2addr_b64 v30, v[28:29], v[32:33] offset1:17
	ds_store_2addr_b64 v30, v[54:55], v[48:49] offset0:34 offset1:51
	ds_store_2addr_b64 v30, v[50:51], v[44:45] offset0:68 offset1:85
	ds_store_b64 v30, v[46:47] offset:816
.LBB0_11:
	s_wait_alu 0xfffe
	s_or_b32 exec_lo, exec_lo, s1
	v_lshlrev_b32_e32 v28, 6, v94
	global_wb scope:SCOPE_SE
	s_wait_dscnt 0x0
	s_barrier_signal -1
	s_barrier_wait -1
	global_inv scope:SCOPE_SE
	s_clause 0x3
	global_load_b128 v[40:43], v28, s[2:3] offset:816
	global_load_b128 v[36:39], v28, s[2:3] offset:832
	;; [unrolled: 1-line block ×4, first 2 shown]
	ds_load_2addr_b64 v[56:59], v93 offset0:119 offset1:238
	v_add_nc_u32_e32 v73, 0x800, v93
	s_wait_loadcnt_dscnt 0x300
	v_dual_mul_f32 v81, v58, v43 :: v_dual_add_nc_u32 v74, 0x1000, v93
	v_mul_f32_e32 v80, v59, v43
	ds_load_2addr_b64 v[60:63], v73 offset0:101 offset1:220
	v_add_nc_u32_e32 v72, 0x1800, v93
	v_add_nc_u32_e32 v75, 0x400, v93
	v_mul_f32_e32 v79, v56, v41
	v_fmac_f32_e32 v81, v59, v42
	s_wait_loadcnt_dscnt 0x200
	s_delay_alu instid0(VALU_DEP_2)
	v_dual_fmac_f32 v79, v57, v40 :: v_dual_mul_f32 v88, v62, v39
	v_mul_f32_e32 v87, v63, v39
	ds_load_2addr_b64 v[64:67], v74 offset0:83 offset1:202
	ds_load_2addr_b64 v[68:71], v72 offset0:65 offset1:184
	ds_load_b64 v[52:53], v93
	v_mul_f32_e32 v78, v57, v41
	v_mul_f32_e32 v83, v60, v37
	v_add_nc_u32_e32 v77, 0x1400, v93
	v_mul_f32_e32 v82, v61, v37
	v_fma_f32 v59, v62, v38, -v87
	v_fmac_f32_e32 v88, v63, v38
	v_add_nc_u32_e32 v76, 0xc00, v93
	v_fma_f32 v57, v58, v42, -v80
	v_fma_f32 v58, v60, v36, -v82
	s_wait_loadcnt_dscnt 0x102
	v_dual_mul_f32 v91, v67, v35 :: v_dual_mul_f32 v90, v64, v33
	s_wait_loadcnt_dscnt 0x1
	v_mul_f32_e32 v101, v71, v31
	v_mul_f32_e32 v102, v70, v31
	v_dual_mul_f32 v100, v68, v29 :: v_dual_fmac_f32 v83, v61, v36
	v_dual_mul_f32 v89, v65, v33 :: v_dual_mul_f32 v92, v66, v35
	s_delay_alu instid0(VALU_DEP_3)
	v_dual_mul_f32 v99, v69, v29 :: v_dual_fmac_f32 v102, v71, v30
	v_fma_f32 v56, v56, v40, -v78
	v_fmac_f32_e32 v90, v65, v32
	v_fma_f32 v62, v70, v30, -v101
	v_fmac_f32_e32 v100, v69, v28
	v_fma_f32 v60, v64, v32, -v89
	v_add_f32_e32 v65, v79, v102
	v_sub_f32_e32 v70, v79, v102
	v_sub_f32_e32 v79, v88, v90
	v_dual_fmac_f32 v92, v67, v34 :: v_dual_add_f32 v67, v81, v100
	v_add_f32_e32 v64, v56, v62
	v_fma_f32 v61, v66, v34, -v91
	v_fma_f32 v63, v68, v28, -v99
	s_delay_alu instid0(VALU_DEP_4)
	v_dual_add_f32 v69, v83, v92 :: v_dual_sub_f32 v56, v56, v62
	v_sub_f32_e32 v71, v81, v100
	s_wait_dscnt 0x0
	v_dual_add_f32 v80, v59, v60 :: v_dual_fmamk_f32 v89, v65, 0x3f441b7d, v53
	v_dual_fmamk_f32 v87, v64, 0x3f441b7d, v52 :: v_dual_sub_f32 v78, v59, v60
	v_add_f32_e32 v66, v57, v63
	v_dual_add_f32 v68, v58, v61 :: v_dual_sub_f32 v57, v57, v63
	v_dual_sub_f32 v58, v58, v61 :: v_dual_add_f32 v81, v88, v90
	v_sub_f32_e32 v61, v83, v92
	v_dual_mul_f32 v82, 0x3f248dbb, v56 :: v_dual_add_f32 v63, v69, v53
	v_mul_f32_e32 v83, 0x3f248dbb, v70
	v_dual_mul_f32 v91, 0xbf248dbb, v78 :: v_dual_mul_f32 v92, 0xbf248dbb, v79
	v_dual_fmamk_f32 v99, v80, 0x3f441b7d, v52 :: v_dual_fmamk_f32 v100, v81, 0x3f441b7d, v53
	s_delay_alu instid0(VALU_DEP_2)
	v_dual_mul_f32 v106, 0x3f7c1c5c, v79 :: v_dual_fmac_f32 v91, 0x3f7c1c5c, v56
	v_dual_add_f32 v101, v78, v56 :: v_dual_add_f32 v102, v79, v70
	v_dual_add_f32 v62, v68, v52 :: v_dual_mul_f32 v105, 0x3f7c1c5c, v78
	v_dual_add_f32 v103, v66, v64 :: v_dual_add_f32 v104, v67, v65
	v_dual_fmac_f32 v82, 0x3f7c1c5c, v57 :: v_dual_fmac_f32 v83, 0x3f7c1c5c, v71
	v_dual_fmac_f32 v87, 0x3e31d0d4, v66 :: v_dual_fmac_f32 v100, 0x3e31d0d4, v65
	v_dual_fmac_f32 v99, 0x3e31d0d4, v64 :: v_dual_sub_f32 v102, v102, v71
	v_fma_f32 v106, 0xbf248dbb, v71, -v106
	v_dual_fmamk_f32 v107, v66, 0x3f441b7d, v52 :: v_dual_add_f32 v108, v80, v103
	v_fmac_f32_e32 v89, 0x3e31d0d4, v67
	v_dual_fmac_f32 v92, 0x3f7c1c5c, v70 :: v_dual_sub_f32 v101, v101, v57
	v_dual_add_f32 v109, v81, v104 :: v_dual_fmac_f32 v82, 0x3f5db3d7, v58
	v_fma_f32 v105, 0xbf248dbb, v57, -v105
	s_delay_alu instid0(VALU_DEP_3)
	v_dual_add_f32 v103, v68, v103 :: v_dual_fmac_f32 v92, 0xbf5db3d7, v61
	v_dual_add_f32 v104, v69, v104 :: v_dual_fmac_f32 v83, 0x3f5db3d7, v61
	v_fmac_f32_e32 v62, -0.5, v108
	v_dual_fmac_f32 v87, -0.5, v68 :: v_dual_mul_f32 v110, 0x3f5db3d7, v101
	v_dual_fmac_f32 v99, -0.5, v68 :: v_dual_fmac_f32 v106, 0x3f5db3d7, v61
	v_fmac_f32_e32 v89, -0.5, v69
	v_fmac_f32_e32 v105, 0x3f5db3d7, v58
	v_fmac_f32_e32 v83, 0x3eaf1d44, v79
	;; [unrolled: 1-line block ×4, first 2 shown]
	v_dual_fmac_f32 v91, 0xbf5db3d7, v58 :: v_dual_add_f32 v58, v59, v103
	v_dual_add_f32 v59, v88, v104 :: v_dual_fmac_f32 v92, 0x3eaf1d44, v71
	v_fmac_f32_e32 v62, 0x3f5db3d7, v102
	s_delay_alu instid0(VALU_DEP_3) | instskip(NEXT) | instid1(VALU_DEP_3)
	v_dual_fmac_f32 v105, 0x3eaf1d44, v56 :: v_dual_add_f32 v56, v60, v58
	v_add_f32_e32 v59, v90, v59
	v_dual_add_f32 v58, v83, v87 :: v_dual_fmac_f32 v91, 0x3eaf1d44, v57
	v_dual_fmac_f32 v107, 0x3e31d0d4, v80 :: v_dual_fmac_f32 v100, -0.5, v69
	s_delay_alu instid0(VALU_DEP_3) | instskip(SKIP_2) | instid1(VALU_DEP_4)
	v_add_f32_e32 v57, v59, v53
	v_fmac_f32_e32 v53, 0x3f441b7d, v67
	v_dual_fmac_f32 v63, -0.5, v109 :: v_dual_fmac_f32 v82, 0x3eaf1d44, v78
	v_dual_fmac_f32 v107, -0.5, v68 :: v_dual_fmac_f32 v100, 0xbf708fb2, v67
	s_delay_alu instid0(VALU_DEP_3) | instskip(SKIP_2) | instid1(VALU_DEP_4)
	v_fmac_f32_e32 v53, 0x3e31d0d4, v81
	v_fmac_f32_e32 v99, 0xbf708fb2, v66
	v_mul_f32_e32 v111, 0x3f5db3d7, v102
	v_fmac_f32_e32 v107, 0xbf708fb2, v64
	v_fmac_f32_e32 v89, 0xbf708fb2, v81
	v_fmac_f32_e32 v53, -0.5, v69
	v_dual_fmac_f32 v63, 0xbf5db3d7, v101 :: v_dual_add_f32 v60, v92, v99
	s_delay_alu instid0(VALU_DEP_3) | instskip(NEXT) | instid1(VALU_DEP_3)
	v_dual_add_f32 v64, v106, v107 :: v_dual_sub_f32 v59, v89, v82
	v_fmac_f32_e32 v53, 0xbf708fb2, v65
	v_sub_f32_e32 v61, v100, v91
	v_fma_f32 v68, -2.0, v111, v62
	v_fma_f32 v69, 2.0, v110, v63
	s_delay_alu instid0(VALU_DEP_4)
	v_dual_add_f32 v56, v56, v52 :: v_dual_sub_f32 v65, v53, v105
	v_fma_f32 v52, -2.0, v83, v58
	v_fma_f32 v53, 2.0, v82, v59
	v_fma_f32 v70, -2.0, v92, v60
	v_fma_f32 v71, 2.0, v91, v61
	;; [unrolled: 2-line block ×3, first 2 shown]
	ds_store_b64 v93, v[56:57]
	ds_store_b64 v93, v[58:59] offset:952
	ds_store_2addr_b64 v75, v[60:61], v[62:63] offset0:110 offset1:229
	ds_store_2addr_b64 v77, v[68:69], v[70:71] offset0:74 offset1:193
	ds_store_b64 v93, v[52:53] offset:7616
	ds_store_2addr_b64 v76, v[64:65], v[66:67] offset0:92 offset1:211
	global_wb scope:SCOPE_SE
	s_wait_dscnt 0x0
	s_barrier_signal -1
	s_barrier_wait -1
	global_inv scope:SCOPE_SE
	s_and_saveexec_b32 s1, vcc_lo
	s_cbranch_execz .LBB0_13
; %bb.12:
	global_load_b64 v[75:76], v93, s[8:9] offset:8568
	s_add_nc_u64 s[2:3], s[8:9], 0x2178
	s_clause 0xf
	global_load_b64 v[91:92], v93, s[2:3] offset:504
	global_load_b64 v[119:120], v93, s[2:3] offset:1008
	;; [unrolled: 1-line block ×16, first 2 shown]
	ds_load_b64 v[77:78], v93
	s_wait_loadcnt_dscnt 0x1000
	v_mul_f32_e32 v79, v78, v76
	v_mul_f32_e32 v80, v77, v76
	s_delay_alu instid0(VALU_DEP_2) | instskip(NEXT) | instid1(VALU_DEP_2)
	v_fma_f32 v79, v77, v75, -v79
	v_fmac_f32_e32 v80, v78, v75
	ds_store_b64 v93, v[79:80]
	ds_load_2addr_b64 v[75:78], v93 offset0:63 offset1:126
	ds_load_2addr_b64 v[79:82], v93 offset0:189 offset1:252
	;; [unrolled: 1-line block ×8, first 2 shown]
	s_wait_loadcnt_dscnt 0xf07
	v_mul_f32_e32 v149, v75, v92
	v_mul_f32_e32 v150, v76, v92
	s_wait_loadcnt 0xe
	v_mul_f32_e32 v151, v78, v120
	v_mul_f32_e32 v92, v77, v120
	s_wait_loadcnt_dscnt 0xd06
	v_mul_f32_e32 v152, v80, v122
	v_dual_fmac_f32 v149, v76, v91 :: v_dual_mul_f32 v120, v79, v122
	s_wait_loadcnt_dscnt 0xb05
	v_dual_mul_f32 v153, v82, v124 :: v_dual_mul_f32 v154, v88, v126
	v_dual_mul_f32 v83, v87, v126 :: v_dual_mul_f32 v122, v81, v124
	s_wait_loadcnt_dscnt 0x904
	v_dual_mul_f32 v155, v90, v128 :: v_dual_mul_f32 v156, v100, v130
	v_mul_f32_e32 v124, v89, v128
	s_wait_loadcnt 0x8
	v_dual_mul_f32 v126, v99, v130 :: v_dual_mul_f32 v157, v102, v132
	v_mul_f32_e32 v128, v101, v132
	s_wait_loadcnt_dscnt 0x603
	v_dual_mul_f32 v158, v104, v134 :: v_dual_mul_f32 v159, v106, v136
	s_wait_loadcnt_dscnt 0x402
	v_dual_mul_f32 v130, v103, v134 :: v_dual_mul_f32 v161, v110, v140
	v_mul_f32_e32 v132, v105, v136
	s_wait_loadcnt_dscnt 0x201
	v_dual_mul_f32 v160, v108, v138 :: v_dual_mul_f32 v163, v114, v144
	v_mul_f32_e32 v134, v107, v138
	v_mul_f32_e32 v136, v109, v140
	;; [unrolled: 1-line block ×5, first 2 shown]
	s_wait_loadcnt_dscnt 0x100
	v_mul_f32_e32 v164, v116, v146
	v_mul_f32_e32 v142, v115, v146
	s_wait_loadcnt 0x0
	v_mul_f32_e32 v146, v118, v148
	v_mul_f32_e32 v144, v117, v148
	v_fma_f32 v148, v75, v91, -v150
	v_fma_f32 v91, v77, v119, -v151
	v_fmac_f32_e32 v92, v78, v119
	v_fma_f32 v119, v79, v121, -v152
	v_fmac_f32_e32 v120, v80, v121
	v_fma_f32 v121, v81, v123, -v153
	v_dual_fmac_f32 v83, v88, v125 :: v_dual_fmac_f32 v122, v82, v123
	v_fma_f32 v82, v87, v125, -v154
	v_fma_f32 v123, v89, v127, -v155
	v_fmac_f32_e32 v124, v90, v127
	v_fma_f32 v125, v99, v129, -v156
	v_fmac_f32_e32 v126, v100, v129
	;; [unrolled: 2-line block ×11, first 2 shown]
	ds_store_2addr_b64 v93, v[148:149], v[91:92] offset0:63 offset1:126
	ds_store_2addr_b64 v93, v[119:120], v[121:122] offset0:189 offset1:252
	;; [unrolled: 1-line block ×8, first 2 shown]
.LBB0_13:
	s_wait_alu 0xfffe
	s_or_b32 exec_lo, exec_lo, s1
	global_wb scope:SCOPE_SE
	s_wait_dscnt 0x0
	s_barrier_signal -1
	s_barrier_wait -1
	global_inv scope:SCOPE_SE
	s_and_saveexec_b32 s1, vcc_lo
	s_cbranch_execz .LBB0_15
; %bb.14:
	v_add_nc_u32_e32 v0, 0x400, v93
	v_add_nc_u32_e32 v1, 0x800, v93
	;; [unrolled: 1-line block ×3, first 2 shown]
	ds_load_2addr_b64 v[56:59], v93 offset1:63
	ds_load_2addr_b64 v[60:63], v93 offset0:126 offset1:189
	v_add_nc_u32_e32 v3, 0x1400, v93
	ds_load_2addr_b64 v[64:67], v0 offset0:124 offset1:187
	v_add_nc_u32_e32 v0, 0x1000, v93
	v_add_nc_u32_e32 v72, 0x1800, v93
	ds_load_2addr_b64 v[68:71], v1 offset0:122 offset1:185
	ds_load_2addr_b64 v[52:55], v2 offset0:120 offset1:183
	;; [unrolled: 1-line block ×5, first 2 shown]
	ds_load_b64 v[85:86], v93 offset:8064
.LBB0_15:
	s_wait_alu 0xfffe
	s_or_b32 exec_lo, exec_lo, s1
	s_wait_dscnt 0x0
	v_dual_sub_f32 v106, v59, v86 :: v_dual_add_f32 v111, v86, v59
	v_dual_add_f32 v99, v85, v58 :: v_dual_sub_f32 v100, v58, v85
	v_add_f32_e32 v133, v49, v71
	s_delay_alu instid0(VALU_DEP_3) | instskip(NEXT) | instid1(VALU_DEP_4)
	v_dual_add_f32 v115, v3, v61 :: v_dual_mul_f32 v80, 0xbf59a7d5, v111
	v_mul_f32_e32 v75, 0xbf06c442, v106
	v_mul_f32_e32 v92, 0x3dbcf732, v111
	v_mul_f32_e32 v91, 0xbf7ee86f, v106
	global_wb scope:SCOPE_SE
	v_fmamk_f32 v81, v100, 0x3f06c442, v80
	v_fmac_f32_e32 v80, 0xbf06c442, v100
	s_barrier_signal -1
	v_fma_f32 v72, 0x3dbcf732, v99, -v91
	s_barrier_wait -1
	global_inv scope:SCOPE_SE
	v_add_f32_e32 v80, v57, v80
	v_dual_mul_f32 v134, 0xbf1a4643, v111 :: v_dual_add_f32 v81, v57, v81
	v_add_f32_e32 v101, v2, v60
	v_add_f32_e32 v72, v56, v72
	v_sub_f32_e32 v108, v61, v3
	s_delay_alu instid0(VALU_DEP_4) | instskip(SKIP_3) | instid1(VALU_DEP_4)
	v_fmamk_f32 v78, v100, 0xbf4c4adb, v134
	v_fmamk_f32 v79, v99, 0xbf59a7d5, v75
	v_fma_f32 v75, 0xbf59a7d5, v99, -v75
	v_mul_f32_e32 v82, 0xbe3c28d5, v106
	v_dual_mul_f32 v131, 0x3f06c442, v108 :: v_dual_add_f32 v78, v57, v78
	s_delay_alu instid0(VALU_DEP_4) | instskip(NEXT) | instid1(VALU_DEP_4)
	v_dual_mul_f32 v130, 0xbf4c4adb, v106 :: v_dual_add_f32 v79, v56, v79
	v_add_f32_e32 v75, v56, v75
	s_delay_alu instid0(VALU_DEP_4) | instskip(SKIP_1) | instid1(VALU_DEP_4)
	v_fmamk_f32 v87, v99, 0xbf7ba420, v82
	v_fma_f32 v82, 0xbf7ba420, v99, -v82
	v_fma_f32 v77, 0xbf1a4643, v99, -v130
	v_mul_f32_e32 v90, 0xbe8c1d8e, v111
	v_dual_mul_f32 v83, 0xbf7ba420, v111 :: v_dual_sub_f32 v102, v60, v2
	s_delay_alu instid0(VALU_DEP_4) | instskip(NEXT) | instid1(VALU_DEP_4)
	v_add_f32_e32 v82, v56, v82
	v_add_f32_e32 v77, v56, v77
	s_delay_alu instid0(VALU_DEP_4) | instskip(SKIP_3) | instid1(VALU_DEP_4)
	v_dual_mul_f32 v89, 0xbf763a35, v106 :: v_dual_fmamk_f32 v76, v100, 0xbf763a35, v90
	v_fmamk_f32 v73, v100, 0xbf7ee86f, v92
	v_fmamk_f32 v88, v100, 0x3e3c28d5, v83
	v_fmac_f32_e32 v83, 0xbe3c28d5, v100
	v_fma_f32 v74, 0xbe8c1d8e, v99, -v89
	v_mul_f32_e32 v128, 0xbf7ba420, v115
	v_add_f32_e32 v76, v57, v76
	v_add_f32_e32 v73, v57, v73
	s_delay_alu instid0(VALU_DEP_4) | instskip(NEXT) | instid1(VALU_DEP_4)
	v_dual_add_f32 v83, v57, v83 :: v_dual_add_f32 v74, v56, v74
	v_fmamk_f32 v104, v102, 0xbe3c28d5, v128
	v_dual_mul_f32 v126, 0xbe3c28d5, v108 :: v_dual_add_f32 v87, v56, v87
	v_dual_add_f32 v88, v57, v88 :: v_dual_mul_f32 v135, 0xbf59a7d5, v115
	s_delay_alu instid0(VALU_DEP_3) | instskip(NEXT) | instid1(VALU_DEP_3)
	v_add_f32_e32 v73, v104, v73
	v_fma_f32 v103, 0xbf7ba420, v101, -v126
	v_sub_f32_e32 v112, v63, v1
	v_sub_f32_e32 v116, v65, v47
	v_fmamk_f32 v104, v102, 0x3f06c442, v135
	v_sub_f32_e32 v120, v67, v45
	v_add_f32_e32 v72, v103, v72
	v_fma_f32 v103, 0xbf59a7d5, v101, -v131
	v_mul_f32_e32 v143, 0xbe8c1d8e, v115
	v_mul_f32_e32 v132, 0x3f763a35, v112
	;; [unrolled: 1-line block ×3, first 2 shown]
	v_add_f32_e32 v124, v45, v67
	v_add_f32_e32 v74, v103, v74
	v_dual_mul_f32 v140, 0x3f763a35, v108 :: v_dual_fmamk_f32 v107, v102, 0x3f763a35, v143
	v_mul_f32_e32 v105, 0x3f65296c, v108
	v_mul_f32_e32 v141, 0x3f2c7751, v112
	;; [unrolled: 1-line block ×3, first 2 shown]
	s_delay_alu instid0(VALU_DEP_4) | instskip(SKIP_3) | instid1(VALU_DEP_4)
	v_fma_f32 v103, 0xbe8c1d8e, v101, -v140
	v_add_f32_e32 v78, v107, v78
	v_add_f32_e32 v76, v104, v76
	v_mul_f32_e32 v107, 0x3eb8f4ab, v108
	v_dual_mul_f32 v104, 0x3ee437d1, v115 :: v_dual_add_f32 v77, v103, v77
	v_fmamk_f32 v103, v101, 0x3ee437d1, v105
	v_fma_f32 v105, 0x3ee437d1, v101, -v105
	v_mul_f32_e32 v152, 0xbe3c28d5, v120
	v_mul_f32_e32 v154, 0xbf7ba420, v124
	s_delay_alu instid0(VALU_DEP_4) | instskip(SKIP_4) | instid1(VALU_DEP_4)
	v_dual_mul_f32 v122, 0x3f6eb680, v124 :: v_dual_add_f32 v79, v103, v79
	v_fmamk_f32 v103, v101, 0x3f6eb680, v107
	v_add_f32_e32 v75, v105, v75
	v_mul_f32_e32 v105, 0x3f6eb680, v115
	v_fma_f32 v107, 0x3f6eb680, v101, -v107
	v_dual_mul_f32 v166, 0x3f6eb680, v133 :: v_dual_add_f32 v87, v103, v87
	v_add_f32_e32 v103, v0, v62
	v_fmamk_f32 v109, v102, 0xbf65296c, v104
	v_fmac_f32_e32 v104, 0x3f65296c, v102
	v_dual_add_f32 v82, v107, v82 :: v_dual_mul_f32 v107, 0xbf7ee86f, v112
	v_mul_f32_e32 v162, 0x3f3d2fb0, v133
	v_mul_f32_e32 v172, 0xbf7ba420, v133
	s_delay_alu instid0(VALU_DEP_4) | instskip(SKIP_3) | instid1(VALU_DEP_3)
	v_add_f32_e32 v80, v104, v80
	v_dual_sub_f32 v104, v62, v0 :: v_dual_add_f32 v119, v1, v63
	v_add_f32_e32 v81, v109, v81
	v_fmamk_f32 v109, v102, 0xbeb8f4ab, v105
	v_mul_f32_e32 v136, 0xbe8c1d8e, v119
	s_delay_alu instid0(VALU_DEP_2) | instskip(SKIP_2) | instid1(VALU_DEP_4)
	v_add_f32_e32 v88, v109, v88
	v_fma_f32 v109, 0xbe8c1d8e, v103, -v132
	v_fmac_f32_e32 v105, 0x3eb8f4ab, v102
	v_fmamk_f32 v110, v104, 0x3f763a35, v136
	v_mul_f32_e32 v150, 0x3f6eb680, v119
	v_dual_fmamk_f32 v113, v103, 0x3dbcf732, v107 :: v_dual_mul_f32 v114, 0x3dbcf732, v119
	v_add_f32_e32 v72, v109, v72
	v_add_f32_e32 v83, v105, v83
	s_delay_alu instid0(VALU_DEP_4)
	v_dual_add_f32 v73, v110, v73 :: v_dual_fmamk_f32 v110, v104, 0xbeb8f4ab, v150
	v_mul_f32_e32 v147, 0xbeb8f4ab, v112
	v_fma_f32 v105, 0x3f3d2fb0, v103, -v141
	v_add_f32_e32 v79, v113, v79
	v_fma_f32 v107, 0x3dbcf732, v103, -v107
	v_add_f32_e32 v78, v110, v78
	v_fma_f32 v109, 0x3f6eb680, v103, -v147
	v_mul_f32_e32 v142, 0x3f3d2fb0, v119
	v_add_f32_e32 v74, v105, v74
	s_delay_alu instid0(VALU_DEP_3) | instskip(NEXT) | instid1(VALU_DEP_3)
	v_add_f32_e32 v77, v109, v77
	v_fmamk_f32 v105, v104, 0x3f2c7751, v142
	v_mul_f32_e32 v109, 0xbf06c442, v112
	v_mul_f32_e32 v110, 0xbf59a7d5, v119
	s_delay_alu instid0(VALU_DEP_3) | instskip(NEXT) | instid1(VALU_DEP_1)
	v_dual_add_f32 v76, v105, v76 :: v_dual_fmamk_f32 v105, v104, 0x3f7ee86f, v114
	v_dual_fmac_f32 v114, 0xbf7ee86f, v104 :: v_dual_add_f32 v81, v105, v81
	s_delay_alu instid0(VALU_DEP_4) | instskip(NEXT) | instid1(VALU_DEP_4)
	v_fmamk_f32 v105, v103, 0xbf59a7d5, v109
	v_fmamk_f32 v113, v104, 0x3f06c442, v110
	v_dual_add_f32 v123, v47, v65 :: v_dual_fmac_f32 v110, 0xbf06c442, v104
	s_delay_alu instid0(VALU_DEP_3) | instskip(NEXT) | instid1(VALU_DEP_2)
	v_dual_mul_f32 v146, 0xbf65296c, v116 :: v_dual_add_f32 v87, v105, v87
	v_dual_add_f32 v105, v46, v64 :: v_dual_mul_f32 v144, 0x3f6eb680, v123
	s_delay_alu instid0(VALU_DEP_3) | instskip(SKIP_1) | instid1(VALU_DEP_3)
	v_add_f32_e32 v83, v110, v83
	v_dual_mul_f32 v155, 0xbf59a7d5, v123 :: v_dual_add_f32 v80, v114, v80
	v_fma_f32 v110, 0x3ee437d1, v105, -v146
	s_delay_alu instid0(VALU_DEP_1) | instskip(SKIP_1) | instid1(VALU_DEP_1)
	v_add_f32_e32 v74, v110, v74
	v_fma_f32 v109, 0xbf59a7d5, v103, -v109
	v_dual_add_f32 v82, v109, v82 :: v_dual_add_f32 v75, v107, v75
	v_add_f32_e32 v88, v113, v88
	v_fma_f32 v113, 0x3f6eb680, v105, -v138
	s_delay_alu instid0(VALU_DEP_1) | instskip(NEXT) | instid1(VALU_DEP_1)
	v_dual_sub_f32 v107, v64, v46 :: v_dual_add_f32 v72, v113, v72
	v_dual_mul_f32 v153, 0xbf06c442, v116 :: v_dual_fmamk_f32 v114, v107, 0xbf06c442, v155
	v_fmamk_f32 v109, v107, 0x3eb8f4ab, v144
	v_mul_f32_e32 v113, 0x3f4c4adb, v116
	s_delay_alu instid0(VALU_DEP_3) | instskip(NEXT) | instid1(VALU_DEP_4)
	v_fma_f32 v110, 0xbf59a7d5, v105, -v153
	v_add_f32_e32 v78, v114, v78
	s_delay_alu instid0(VALU_DEP_4) | instskip(NEXT) | instid1(VALU_DEP_3)
	v_dual_mul_f32 v148, 0x3ee437d1, v123 :: v_dual_add_f32 v73, v109, v73
	v_dual_mul_f32 v114, 0x3f2c7751, v116 :: v_dual_add_f32 v77, v110, v77
	v_fmamk_f32 v110, v105, 0xbf1a4643, v113
	s_delay_alu instid0(VALU_DEP_3) | instskip(SKIP_2) | instid1(VALU_DEP_4)
	v_fmamk_f32 v109, v107, 0xbf65296c, v148
	v_fma_f32 v113, 0xbf1a4643, v105, -v113
	v_mul_f32_e32 v149, 0x3ee437d1, v124
	v_dual_add_f32 v79, v110, v79 :: v_dual_fmamk_f32 v110, v105, 0x3f3d2fb0, v114
	s_delay_alu instid0(VALU_DEP_4) | instskip(NEXT) | instid1(VALU_DEP_4)
	v_dual_add_f32 v76, v109, v76 :: v_dual_mul_f32 v109, 0xbf1a4643, v123
	v_add_f32_e32 v75, v113, v75
	v_mul_f32_e32 v113, 0x3f3d2fb0, v123
	s_delay_alu instid0(VALU_DEP_4) | instskip(NEXT) | instid1(VALU_DEP_4)
	v_add_f32_e32 v87, v110, v87
	v_dual_sub_f32 v110, v66, v44 :: v_dual_fmamk_f32 v117, v107, 0xbf4c4adb, v109
	v_fmac_f32_e32 v109, 0x3f4c4adb, v107
	v_fma_f32 v114, 0x3f3d2fb0, v105, -v114
	s_delay_alu instid0(VALU_DEP_3) | instskip(NEXT) | instid1(VALU_DEP_3)
	v_fmamk_f32 v118, v110, 0xbf65296c, v149
	v_add_f32_e32 v80, v109, v80
	v_add_f32_e32 v81, v117, v81
	s_delay_alu instid0(VALU_DEP_4) | instskip(SKIP_1) | instid1(VALU_DEP_2)
	v_dual_fmamk_f32 v117, v107, 0xbf2c7751, v113 :: v_dual_add_f32 v82, v114, v82
	v_dual_add_f32 v109, v44, v66 :: v_dual_mul_f32 v114, 0xbeb8f4ab, v120
	v_dual_add_f32 v73, v118, v73 :: v_dual_add_f32 v88, v117, v88
	v_fmac_f32_e32 v113, 0x3f2c7751, v107
	s_delay_alu instid0(VALU_DEP_1) | instskip(NEXT) | instid1(VALU_DEP_4)
	v_add_f32_e32 v83, v113, v83
	v_fma_f32 v113, 0xbf7ba420, v109, -v152
	s_delay_alu instid0(VALU_DEP_1) | instskip(NEXT) | instid1(VALU_DEP_1)
	v_dual_mul_f32 v145, 0xbf65296c, v120 :: v_dual_add_f32 v74, v113, v74
	v_fma_f32 v117, 0x3ee437d1, v109, -v145
	v_fmamk_f32 v121, v109, 0x3f6eb680, v114
	v_fma_f32 v114, 0x3f6eb680, v109, -v114
	s_delay_alu instid0(VALU_DEP_3) | instskip(NEXT) | instid1(VALU_DEP_3)
	v_dual_add_f32 v72, v117, v72 :: v_dual_add_f32 v127, v51, v69
	v_add_f32_e32 v79, v121, v79
	s_delay_alu instid0(VALU_DEP_2) | instskip(SKIP_4) | instid1(VALU_DEP_2)
	v_mul_f32_e32 v168, 0x3f3d2fb0, v127
	v_sub_f32_e32 v125, v69, v51
	v_dual_add_f32 v75, v114, v75 :: v_dual_sub_f32 v114, v68, v50
	v_dual_mul_f32 v159, 0x3f7ee86f, v120 :: v_dual_fmamk_f32 v118, v110, 0x3f7ee86f, v161
	v_mul_f32_e32 v160, 0x3dbcf732, v127
	v_fma_f32 v117, 0x3dbcf732, v109, -v159
	s_delay_alu instid0(VALU_DEP_3) | instskip(NEXT) | instid1(VALU_DEP_2)
	v_add_f32_e32 v78, v118, v78
	v_dual_mul_f32 v118, 0xbf1a4643, v124 :: v_dual_add_f32 v77, v117, v77
	v_mul_f32_e32 v117, 0xbf4c4adb, v120
	s_delay_alu instid0(VALU_DEP_2) | instskip(SKIP_2) | instid1(VALU_DEP_3)
	v_fmamk_f32 v121, v110, 0x3f4c4adb, v118
	v_fmamk_f32 v113, v110, 0xbe3c28d5, v154
	v_fmac_f32_e32 v118, 0xbf4c4adb, v110
	v_add_f32_e32 v88, v121, v88
	s_delay_alu instid0(VALU_DEP_3) | instskip(NEXT) | instid1(VALU_DEP_1)
	v_dual_add_f32 v76, v113, v76 :: v_dual_fmamk_f32 v113, v110, 0x3eb8f4ab, v122
	v_dual_fmac_f32 v122, 0xbeb8f4ab, v110 :: v_dual_add_f32 v81, v113, v81
	s_delay_alu instid0(VALU_DEP_1)
	v_add_f32_e32 v80, v122, v80
	v_fmamk_f32 v122, v114, 0xbf2c7751, v168
	v_fmamk_f32 v113, v109, 0xbf1a4643, v117
	v_mul_f32_e32 v151, 0xbf06c442, v125
	v_fma_f32 v117, 0xbf1a4643, v109, -v117
	v_mul_f32_e32 v158, 0x3f7ee86f, v125
	s_delay_alu instid0(VALU_DEP_4) | instskip(SKIP_1) | instid1(VALU_DEP_4)
	v_dual_add_f32 v78, v122, v78 :: v_dual_add_f32 v87, v113, v87
	v_dual_mul_f32 v122, 0x3f65296c, v125 :: v_dual_add_f32 v113, v50, v68
	v_dual_add_f32 v82, v117, v82 :: v_dual_mul_f32 v165, 0xbf2c7751, v125
	s_delay_alu instid0(VALU_DEP_2) | instskip(NEXT) | instid1(VALU_DEP_1)
	v_fma_f32 v121, 0xbf59a7d5, v113, -v151
	v_dual_add_f32 v72, v121, v72 :: v_dual_mul_f32 v121, 0xbe3c28d5, v125
	v_add_f32_e32 v83, v118, v83
	v_fma_f32 v118, 0x3dbcf732, v113, -v158
	v_mul_f32_e32 v156, 0xbf59a7d5, v127
	s_delay_alu instid0(VALU_DEP_2) | instskip(SKIP_1) | instid1(VALU_DEP_1)
	v_add_f32_e32 v74, v118, v74
	v_fma_f32 v118, 0x3f3d2fb0, v113, -v165
	v_dual_add_f32 v77, v118, v77 :: v_dual_fmamk_f32 v118, v113, 0xbf7ba420, v121
	s_delay_alu instid0(VALU_DEP_1) | instskip(SKIP_1) | instid1(VALU_DEP_2)
	v_dual_add_f32 v79, v118, v79 :: v_dual_fmamk_f32 v118, v113, 0x3ee437d1, v122
	v_fma_f32 v122, 0x3ee437d1, v113, -v122
	v_add_f32_e32 v87, v118, v87
	s_delay_alu instid0(VALU_DEP_2) | instskip(SKIP_1) | instid1(VALU_DEP_1)
	v_add_f32_e32 v82, v122, v82
	v_fma_f32 v121, 0xbf7ba420, v113, -v121
	v_dual_sub_f32 v118, v70, v48 :: v_dual_add_f32 v75, v121, v75
	v_mul_f32_e32 v121, 0x3ee437d1, v127
	s_delay_alu instid0(VALU_DEP_1) | instskip(SKIP_1) | instid1(VALU_DEP_2)
	v_fmamk_f32 v137, v114, 0xbf65296c, v121
	v_fmamk_f32 v117, v114, 0xbf06c442, v156
	v_dual_fmac_f32 v121, 0x3f65296c, v114 :: v_dual_add_f32 v88, v137, v88
	s_delay_alu instid0(VALU_DEP_2) | instskip(SKIP_1) | instid1(VALU_DEP_3)
	v_add_f32_e32 v73, v117, v73
	v_fmamk_f32 v117, v114, 0x3f7ee86f, v160
	v_add_f32_e32 v83, v121, v83
	s_delay_alu instid0(VALU_DEP_2) | instskip(NEXT) | instid1(VALU_DEP_1)
	v_dual_add_f32 v76, v117, v76 :: v_dual_mul_f32 v117, 0xbf7ba420, v127
	v_fmamk_f32 v129, v114, 0x3e3c28d5, v117
	s_delay_alu instid0(VALU_DEP_1) | instskip(SKIP_1) | instid1(VALU_DEP_1)
	v_add_f32_e32 v81, v129, v81
	v_sub_f32_e32 v129, v71, v49
	v_dual_fmac_f32 v117, 0xbe3c28d5, v114 :: v_dual_mul_f32 v170, 0xbe3c28d5, v129
	s_delay_alu instid0(VALU_DEP_1) | instskip(SKIP_1) | instid1(VALU_DEP_1)
	v_dual_add_f32 v80, v117, v80 :: v_dual_add_f32 v117, v48, v70
	v_mul_f32_e32 v164, 0xbeb8f4ab, v129
	v_fma_f32 v121, 0x3f6eb680, v117, -v164
	s_delay_alu instid0(VALU_DEP_1) | instskip(NEXT) | instid1(VALU_DEP_1)
	v_dual_add_f32 v175, v121, v74 :: v_dual_fmamk_f32 v74, v118, 0xbeb8f4ab, v166
	v_add_f32_e32 v76, v74, v76
	v_fmamk_f32 v74, v118, 0xbf2c7751, v162
	v_mul_f32_e32 v122, 0x3f2c7751, v129
	v_mul_f32_e32 v163, 0xbf1a4643, v133
	v_fmac_f32_e32 v162, 0x3f2c7751, v118
	v_mul_f32_e32 v157, 0x3f4c4adb, v129
	s_delay_alu instid0(VALU_DEP_3) | instskip(NEXT) | instid1(VALU_DEP_3)
	v_fmamk_f32 v139, v118, 0x3f4c4adb, v163
	v_add_f32_e32 v80, v162, v80
	s_delay_alu instid0(VALU_DEP_3) | instskip(NEXT) | instid1(VALU_DEP_1)
	v_fma_f32 v137, 0xbf1a4643, v117, -v157
	v_dual_add_f32 v73, v139, v73 :: v_dual_add_f32 v72, v137, v72
	v_fmamk_f32 v137, v118, 0xbe3c28d5, v172
	s_delay_alu instid0(VALU_DEP_1) | instskip(SKIP_4) | instid1(VALU_DEP_4)
	v_add_f32_e32 v176, v137, v78
	v_mul_f32_e32 v78, 0xbf763a35, v129
	v_add_f32_e32 v81, v74, v81
	v_fma_f32 v121, 0xbf7ba420, v117, -v170
	v_sub_f32_e32 v137, v53, v55
	v_fmamk_f32 v74, v117, 0xbe8c1d8e, v78
	s_delay_alu instid0(VALU_DEP_2) | instskip(SKIP_1) | instid1(VALU_DEP_3)
	v_mul_f32_e32 v162, 0x3f2c7751, v137
	v_mul_f32_e32 v173, 0x3f65296c, v137
	v_add_f32_e32 v179, v74, v87
	v_fma_f32 v74, 0xbe8c1d8e, v117, -v78
	v_fmamk_f32 v139, v117, 0x3f3d2fb0, v122
	s_delay_alu instid0(VALU_DEP_2) | instskip(NEXT) | instid1(VALU_DEP_2)
	v_dual_mul_f32 v87, 0xbf763a35, v137 :: v_dual_add_f32 v82, v74, v82
	v_add_f32_e32 v177, v139, v79
	v_add_f32_e32 v139, v55, v53
	s_delay_alu instid0(VALU_DEP_1) | instskip(SKIP_4) | instid1(VALU_DEP_3)
	v_mul_f32_e32 v167, 0x3f3d2fb0, v139
	v_add_f32_e32 v77, v121, v77
	v_fma_f32 v121, 0x3f3d2fb0, v117, -v122
	v_mul_f32_e32 v174, 0x3ee437d1, v139
	v_mul_f32_e32 v171, 0xbf1a4643, v139
	v_dual_add_f32 v178, v121, v75 :: v_dual_add_f32 v121, v54, v52
	v_mul_f32_e32 v79, 0xbe8c1d8e, v133
	s_delay_alu instid0(VALU_DEP_2) | instskip(NEXT) | instid1(VALU_DEP_2)
	v_fma_f32 v75, 0x3f3d2fb0, v121, -v162
	v_fmamk_f32 v122, v118, 0x3f763a35, v79
	s_delay_alu instid0(VALU_DEP_2) | instskip(NEXT) | instid1(VALU_DEP_2)
	v_add_f32_e32 v74, v75, v72
	v_add_f32_e32 v180, v122, v88
	v_sub_f32_e32 v122, v52, v54
	s_delay_alu instid0(VALU_DEP_1) | instskip(NEXT) | instid1(VALU_DEP_1)
	v_fmamk_f32 v78, v122, 0x3f2c7751, v167
	v_add_f32_e32 v75, v78, v73
	v_fmamk_f32 v73, v122, 0xbf4c4adb, v171
	v_fma_f32 v78, 0x3ee437d1, v121, -v173
	s_delay_alu instid0(VALU_DEP_2) | instskip(SKIP_1) | instid1(VALU_DEP_3)
	v_add_f32_e32 v73, v73, v76
	v_fmamk_f32 v76, v121, 0xbe8c1d8e, v87
	v_dual_fmac_f32 v79, 0xbf763a35, v118 :: v_dual_add_f32 v78, v78, v77
	v_mul_f32_e32 v169, 0xbf4c4adb, v137
	s_delay_alu instid0(VALU_DEP_2) | instskip(SKIP_1) | instid1(VALU_DEP_3)
	v_add_f32_e32 v83, v79, v83
	v_fmamk_f32 v79, v122, 0x3f65296c, v174
	v_fma_f32 v72, 0xbf1a4643, v121, -v169
	s_delay_alu instid0(VALU_DEP_2) | instskip(SKIP_1) | instid1(VALU_DEP_3)
	v_add_f32_e32 v79, v79, v176
	v_fma_f32 v176, 0xbe8c1d8e, v121, -v87
	v_add_f32_e32 v72, v72, v175
	v_add_f32_e32 v87, v76, v177
	s_delay_alu instid0(VALU_DEP_3) | instskip(SKIP_2) | instid1(VALU_DEP_2)
	v_dual_mul_f32 v177, 0x3f7ee86f, v137 :: v_dual_add_f32 v76, v176, v178
	v_mul_f32_e32 v175, 0xbe8c1d8e, v139
	v_mul_f32_e32 v181, 0x3dbcf732, v139
	v_fmamk_f32 v77, v122, 0x3f763a35, v175
	s_delay_alu instid0(VALU_DEP_2) | instskip(SKIP_1) | instid1(VALU_DEP_3)
	v_fmamk_f32 v176, v122, 0xbf7ee86f, v181
	v_fmac_f32_e32 v175, 0xbf763a35, v122
	v_dual_fmac_f32 v181, 0x3f7ee86f, v122 :: v_dual_add_f32 v88, v77, v81
	v_fmamk_f32 v81, v121, 0x3dbcf732, v177
	v_fma_f32 v177, 0x3dbcf732, v121, -v177
	s_delay_alu instid0(VALU_DEP_4) | instskip(NEXT) | instid1(VALU_DEP_4)
	v_add_f32_e32 v77, v175, v80
	v_add_f32_e32 v83, v181, v83
	s_delay_alu instid0(VALU_DEP_4) | instskip(NEXT) | instid1(VALU_DEP_4)
	v_dual_add_f32 v80, v81, v179 :: v_dual_add_f32 v81, v176, v180
	v_add_f32_e32 v82, v177, v82
	s_and_saveexec_b32 s1, vcc_lo
	s_cbranch_execz .LBB0_17
; %bb.16:
	v_mul_f32_e32 v180, 0xbf4c4adb, v100
	v_mul_f32_e32 v175, 0x3dbcf732, v99
	;; [unrolled: 1-line block ×3, first 2 shown]
	v_dual_mul_f32 v198, 0xbf06c442, v107 :: v_dual_mul_f32 v205, 0xbf06c442, v114
	s_delay_alu instid0(VALU_DEP_4) | instskip(SKIP_3) | instid1(VALU_DEP_4)
	v_dual_sub_f32 v134, v134, v180 :: v_dual_mul_f32 v177, 0xbe8c1d8e, v99
	v_mul_f32_e32 v178, 0xbf763a35, v100
	v_mul_f32_e32 v204, 0x3f7ee86f, v110
	;; [unrolled: 1-line block ×3, first 2 shown]
	v_add_f32_e32 v134, v57, v134
	v_dual_mul_f32 v202, 0xbe3c28d5, v110 :: v_dual_add_f32 v89, v177, v89
	v_mul_f32_e32 v208, 0xbf2c7751, v114
	v_mul_f32_e32 v191, 0x3f6eb680, v103
	v_mul_f32_e32 v189, 0x3f3d2fb0, v103
	s_delay_alu instid0(VALU_DEP_4) | instskip(SKIP_4) | instid1(VALU_DEP_4)
	v_dual_mul_f32 v190, 0x3f2c7751, v104 :: v_dual_add_f32 v89, v56, v89
	v_mul_f32_e32 v186, 0x3f763a35, v102
	v_mul_f32_e32 v176, 0xbf7ee86f, v100
	v_dual_add_f32 v58, v58, v56 :: v_dual_add_f32 v91, v175, v91
	v_add_f32_e32 v59, v59, v57
	v_sub_f32_e32 v143, v143, v186
	v_mul_f32_e32 v179, 0xbf1a4643, v99
	v_mul_f32_e32 v186, 0x3f3d2fb0, v113
	v_add_f32_e32 v141, v189, v141
	s_delay_alu instid0(VALU_DEP_4) | instskip(NEXT) | instid1(VALU_DEP_4)
	v_dual_add_f32 v91, v56, v91 :: v_dual_add_f32 v134, v143, v134
	v_dual_mul_f32 v181, 0xbf7ba420, v101 :: v_dual_add_f32 v130, v179, v130
	v_mul_f32_e32 v179, 0xbeb8f4ab, v118
	v_dual_mul_f32 v182, 0xbe3c28d5, v102 :: v_dual_sub_f32 v143, v150, v192
	v_mul_f32_e32 v183, 0xbf59a7d5, v101
	s_delay_alu instid0(VALU_DEP_4) | instskip(NEXT) | instid1(VALU_DEP_3)
	v_dual_mul_f32 v185, 0xbe8c1d8e, v101 :: v_dual_add_f32 v130, v56, v130
	v_dual_mul_f32 v187, 0xbe8c1d8e, v103 :: v_dual_add_f32 v134, v143, v134
	s_delay_alu instid0(VALU_DEP_2) | instskip(SKIP_3) | instid1(VALU_DEP_4)
	v_dual_sub_f32 v143, v155, v198 :: v_dual_add_f32 v140, v185, v140
	v_mul_f32_e32 v193, 0x3f6eb680, v105
	v_mul_f32_e32 v195, 0x3ee437d1, v105
	v_mul_f32_e32 v150, 0x3f6eb680, v117
	v_add_f32_e32 v134, v143, v134
	v_dual_add_f32 v130, v140, v130 :: v_dual_sub_f32 v143, v161, v204
	v_dual_mul_f32 v197, 0xbf59a7d5, v105 :: v_dual_add_f32 v140, v191, v147
	v_mul_f32_e32 v199, 0x3ee437d1, v109
	s_delay_alu instid0(VALU_DEP_3) | instskip(SKIP_1) | instid1(VALU_DEP_4)
	v_dual_mul_f32 v201, 0xbf7ba420, v109 :: v_dual_add_f32 v134, v143, v134
	v_sub_f32_e32 v143, v168, v208
	v_dual_add_f32 v130, v140, v130 :: v_dual_mul_f32 v203, 0x3dbcf732, v109
	v_dual_mul_f32 v207, 0x3f7ee86f, v114 :: v_dual_add_f32 v140, v197, v153
	s_delay_alu instid0(VALU_DEP_3) | instskip(SKIP_2) | instid1(VALU_DEP_4)
	v_add_f32_e32 v134, v143, v134
	v_mul_f32_e32 v155, 0xbe3c28d5, v118
	v_dual_mul_f32 v180, 0xbf59a7d5, v113 :: v_dual_add_f32 v131, v183, v131
	v_dual_mul_f32 v209, 0xbf1a4643, v117 :: v_dual_add_f32 v130, v140, v130
	v_dual_mul_f32 v185, 0x3f3d2fb0, v121 :: v_dual_sub_f32 v90, v90, v178
	v_mul_f32_e32 v168, 0x3f65296c, v122
	v_add_f32_e32 v140, v203, v159
	v_dual_mul_f32 v188, 0x3f763a35, v104 :: v_dual_sub_f32 v143, v172, v155
	v_mul_f32_e32 v194, 0x3eb8f4ab, v107
	v_dual_mul_f32 v196, 0xbf65296c, v107 :: v_dual_add_f32 v159, v57, v90
	v_dual_mul_f32 v200, 0xbf65296c, v110 :: v_dual_sub_f32 v135, v135, v184
	v_dual_mul_f32 v210, 0x3f4c4adb, v118 :: v_dual_add_f32 v131, v131, v89
	v_mul_f32_e32 v192, 0xbf7ba420, v117
	v_dual_mul_f32 v161, 0xbf1a4643, v121 :: v_dual_add_f32 v134, v143, v134
	v_dual_mul_f32 v155, 0x3ee437d1, v121 :: v_dual_add_f32 v130, v140, v130
	v_sub_f32_e32 v143, v174, v168
	v_dual_add_f32 v140, v186, v165 :: v_dual_add_f32 v131, v141, v131
	v_mul_f32_e32 v147, 0x3f2c7751, v122
	v_add_f32_e32 v135, v135, v159
	s_delay_alu instid0(VALU_DEP_4) | instskip(NEXT) | instid1(VALU_DEP_4)
	v_add_f32_e32 v90, v143, v134
	v_add_f32_e32 v130, v140, v130
	v_add_f32_e32 v134, v192, v170
	v_sub_f32_e32 v140, v142, v190
	v_mul_f32_e32 v206, 0x3dbcf732, v113
	v_add_f32_e32 v126, v181, v126
	v_sub_f32_e32 v92, v92, v176
	s_delay_alu instid0(VALU_DEP_4) | instskip(SKIP_3) | instid1(VALU_DEP_3)
	v_dual_add_f32 v130, v134, v130 :: v_dual_add_f32 v135, v140, v135
	v_add_f32_e32 v134, v155, v173
	v_sub_f32_e32 v140, v148, v196
	v_dual_sub_f32 v128, v128, v182 :: v_dual_add_f32 v91, v126, v91
	v_dual_add_f32 v126, v187, v132 :: v_dual_add_f32 v89, v134, v130
	s_delay_alu instid0(VALU_DEP_3) | instskip(SKIP_2) | instid1(VALU_DEP_4)
	v_dual_add_f32 v130, v140, v135 :: v_dual_add_f32 v135, v195, v146
	v_sub_f32_e32 v134, v154, v202
	v_dual_add_f32 v132, v161, v169 :: v_dual_mul_f32 v143, 0xbf4c4adb, v108
	v_add_f32_e32 v126, v126, v91
	s_delay_alu instid0(VALU_DEP_4) | instskip(SKIP_3) | instid1(VALU_DEP_3)
	v_add_f32_e32 v131, v135, v131
	v_add_f32_e32 v135, v201, v152
	v_dual_mul_f32 v142, 0x3f3d2fb0, v124 :: v_dual_add_f32 v59, v61, v59
	v_mul_f32_e32 v141, 0xbe8c1d8e, v123
	v_dual_mul_f32 v146, 0x3dbcf732, v133 :: v_dual_add_f32 v131, v135, v131
	v_add_f32_e32 v135, v206, v158
	s_delay_alu instid0(VALU_DEP_4)
	v_add_f32_e32 v59, v63, v59
	v_mul_f32_e32 v153, 0xbf4c4adb, v122
	v_mul_f32_e32 v168, 0x3f06c442, v120
	v_add_f32_e32 v140, v180, v151
	v_dual_add_f32 v131, v135, v131 :: v_dual_add_f32 v92, v57, v92
	v_sub_f32_e32 v135, v149, v200
	v_dual_fmamk_f32 v149, v118, 0x3f7ee86f, v146 :: v_dual_add_f32 v148, v185, v162
	s_delay_alu instid0(VALU_DEP_3) | instskip(SKIP_3) | instid1(VALU_DEP_3)
	v_dual_mul_f32 v61, 0x3eb8f4ab, v137 :: v_dual_add_f32 v92, v128, v92
	v_sub_f32_e32 v128, v136, v188
	v_dual_add_f32 v136, v150, v164 :: v_dual_mul_f32 v151, 0xbf59a7d5, v139
	v_mul_f32_e32 v164, 0x3ee437d1, v133
	v_dual_mul_f32 v155, 0xbf1a4643, v119 :: v_dual_add_f32 v92, v128, v92
	s_delay_alu instid0(VALU_DEP_3) | instskip(SKIP_3) | instid1(VALU_DEP_4)
	v_dual_add_f32 v131, v136, v131 :: v_dual_add_f32 v130, v134, v130
	v_sub_f32_e32 v128, v144, v194
	v_mul_f32_e32 v136, 0x3ee437d1, v111
	v_dual_mul_f32 v144, 0x3f6eb680, v127 :: v_dual_fmamk_f32 v63, v121, 0x3f6eb680, v61
	v_add_f32_e32 v91, v132, v131
	v_mul_f32_e32 v132, 0xbf1a4643, v115
	v_sub_f32_e32 v134, v160, v207
	v_dual_add_f32 v128, v128, v92 :: v_dual_add_f32 v131, v199, v145
	v_mul_f32_e32 v145, 0x3e3c28d5, v112
	v_mul_f32_e32 v160, 0xbf7ee86f, v108
	s_delay_alu instid0(VALU_DEP_3)
	v_dual_mul_f32 v161, 0xbe8c1d8e, v127 :: v_dual_add_f32 v128, v135, v128
	v_fmamk_f32 v135, v102, 0x3f4c4adb, v132
	v_add_f32_e32 v130, v134, v130
	v_sub_f32_e32 v134, v166, v179
	v_fmamk_f32 v162, v101, 0x3dbcf732, v160
	v_mul_f32_e32 v165, 0xbe3c28d5, v116
	v_mul_f32_e32 v152, 0x3dbcf732, v115
	s_delay_alu instid0(VALU_DEP_4) | instskip(SKIP_3) | instid1(VALU_DEP_4)
	v_dual_mul_f32 v115, 0x3f3d2fb0, v115 :: v_dual_add_f32 v130, v134, v130
	v_sub_f32_e32 v134, v171, v153
	v_mul_f32_e32 v158, 0xbf7ba420, v123
	v_mul_f32_e32 v169, 0x3f65296c, v129
	v_fmamk_f32 v170, v102, 0x3f2c7751, v115
	s_delay_alu instid0(VALU_DEP_4) | instskip(SKIP_4) | instid1(VALU_DEP_4)
	v_dual_mul_f32 v153, 0xbf7ee86f, v129 :: v_dual_add_f32 v92, v134, v130
	v_sub_f32_e32 v130, v156, v205
	v_fmamk_f32 v156, v122, 0x3f06c442, v151
	v_add_f32_e32 v134, v193, v138
	v_mul_f32_e32 v138, 0xbf7ba420, v119
	v_dual_mul_f32 v123, 0x3dbcf732, v123 :: v_dual_add_f32 v128, v130, v128
	v_sub_f32_e32 v130, v163, v210
	s_delay_alu instid0(VALU_DEP_4) | instskip(SKIP_1) | instid1(VALU_DEP_3)
	v_dual_add_f32 v126, v134, v126 :: v_dual_mul_f32 v163, 0xbf4c4adb, v112
	v_dual_sub_f32 v134, v167, v147 :: v_dual_fmamk_f32 v167, v118, 0xbf65296c, v164
	v_add_f32_e32 v128, v130, v128
	v_fmamk_f32 v130, v100, 0x3f65296c, v136
	s_delay_alu instid0(VALU_DEP_4) | instskip(SKIP_1) | instid1(VALU_DEP_3)
	v_dual_add_f32 v126, v131, v126 :: v_dual_mul_f32 v119, 0x3ee437d1, v119
	v_add_f32_e32 v59, v65, v59
	v_dual_add_f32 v131, v134, v128 :: v_dual_add_f32 v130, v57, v130
	s_delay_alu instid0(VALU_DEP_3)
	v_add_f32_e32 v126, v140, v126
	v_add_f32_e32 v134, v209, v157
	v_mul_f32_e32 v140, 0xbf65296c, v106
	v_mul_f32_e32 v65, 0xbeb8f4ab, v106
	v_add_f32_e32 v128, v135, v130
	v_fmamk_f32 v130, v104, 0xbe3c28d5, v138
	v_add_f32_e32 v126, v134, v126
	v_fmamk_f32 v134, v99, 0x3ee437d1, v140
	v_dual_fmamk_f32 v135, v101, 0xbf1a4643, v143 :: v_dual_add_f32 v58, v60, v58
	s_delay_alu instid0(VALU_DEP_4) | instskip(SKIP_1) | instid1(VALU_DEP_4)
	v_add_f32_e32 v128, v130, v128
	v_fmamk_f32 v130, v107, 0xbf763a35, v141
	v_dual_add_f32 v134, v56, v134 :: v_dual_mul_f32 v147, 0x3f763a35, v116
	v_dual_mul_f32 v150, 0x3f2c7751, v120 :: v_dual_add_f32 v59, v67, v59
	s_delay_alu instid0(VALU_DEP_3) | instskip(SKIP_1) | instid1(VALU_DEP_4)
	v_add_f32_e32 v128, v130, v128
	v_fmamk_f32 v130, v110, 0xbf2c7751, v142
	v_add_f32_e32 v134, v135, v134
	v_dual_fmamk_f32 v135, v103, 0xbf7ba420, v145 :: v_dual_add_f32 v58, v62, v58
	s_delay_alu instid0(VALU_DEP_3) | instskip(SKIP_1) | instid1(VALU_DEP_3)
	v_dual_add_f32 v59, v69, v59 :: v_dual_add_f32 v128, v130, v128
	v_fmamk_f32 v130, v114, 0x3eb8f4ab, v144
	v_dual_add_f32 v134, v135, v134 :: v_dual_fmamk_f32 v135, v105, 0xbe8c1d8e, v147
	s_delay_alu instid0(VALU_DEP_4) | instskip(SKIP_1) | instid1(VALU_DEP_4)
	v_add_f32_e32 v58, v64, v58
	v_mul_f32_e32 v64, 0xbf2c7751, v108
	v_add_f32_e32 v128, v130, v128
	v_add_f32_e32 v130, v148, v126
	v_mul_f32_e32 v148, 0x3f3d2fb0, v111
	v_add_f32_e32 v58, v66, v58
	v_mul_f32_e32 v66, 0xbf59a7d5, v133
	v_add_f32_e32 v126, v149, v128
	v_add_f32_e32 v128, v135, v134
	v_dual_fmamk_f32 v134, v109, 0x3f3d2fb0, v150 :: v_dual_add_f32 v59, v71, v59
	v_fmamk_f32 v67, v101, 0x3f3d2fb0, v64
	v_fmamk_f32 v135, v100, 0x3f2c7751, v148
	v_dual_mul_f32 v149, 0xbeb8f4ab, v125 :: v_dual_add_f32 v58, v68, v58
	s_delay_alu instid0(VALU_DEP_4) | instskip(NEXT) | instid1(VALU_DEP_3)
	v_dual_add_f32 v53, v53, v59 :: v_dual_mul_f32 v68, 0xbf65296c, v112
	v_add_f32_e32 v135, v57, v135
	v_fmamk_f32 v69, v118, 0x3f06c442, v66
	s_delay_alu instid0(VALU_DEP_3) | instskip(SKIP_3) | instid1(VALU_DEP_3)
	v_dual_add_f32 v128, v134, v128 :: v_dual_add_f32 v53, v55, v53
	v_fmamk_f32 v154, v102, 0x3f7ee86f, v152
	v_dual_add_f32 v58, v70, v58 :: v_dual_fmamk_f32 v59, v103, 0x3ee437d1, v68
	v_fmamk_f32 v134, v113, 0x3f6eb680, v149
	v_dual_add_f32 v49, v49, v53 :: v_dual_add_f32 v154, v154, v135
	s_delay_alu instid0(VALU_DEP_3) | instskip(NEXT) | instid1(VALU_DEP_3)
	v_add_f32_e32 v52, v52, v58
	v_dual_fmamk_f32 v157, v104, 0x3f4c4adb, v155 :: v_dual_add_f32 v128, v134, v128
	v_mul_f32_e32 v53, 0xbf7ba420, v139
	s_delay_alu instid0(VALU_DEP_4) | instskip(NEXT) | instid1(VALU_DEP_4)
	v_dual_fmamk_f32 v134, v117, 0x3dbcf732, v153 :: v_dual_add_f32 v49, v51, v49
	v_dual_add_f32 v135, v156, v126 :: v_dual_add_f32 v52, v54, v52
	s_delay_alu instid0(VALU_DEP_2) | instskip(NEXT) | instid1(VALU_DEP_3)
	v_dual_fmac_f32 v151, 0xbf06c442, v122 :: v_dual_add_f32 v126, v134, v128
	v_dual_add_f32 v49, v45, v49 :: v_dual_mul_f32 v156, 0xbf2c7751, v106
	v_add_f32_e32 v128, v157, v154
	v_mul_f32_e32 v154, 0xbf59a7d5, v124
	v_add_f32_e32 v48, v48, v52
	v_fmamk_f32 v52, v122, 0x3e3c28d5, v53
	v_fmamk_f32 v134, v107, 0x3e3c28d5, v158
	v_add_f32_e32 v47, v47, v49
	v_fmamk_f32 v159, v99, 0x3f3d2fb0, v156
	v_mul_f32_e32 v157, 0xbf06c442, v137
	s_delay_alu instid0(VALU_DEP_4) | instskip(NEXT) | instid1(VALU_DEP_3)
	v_dual_mul_f32 v51, 0xbf4c4adb, v125 :: v_dual_add_f32 v128, v134, v128
	v_dual_fmamk_f32 v134, v110, 0xbf06c442, v154 :: v_dual_add_f32 v159, v56, v159
	v_add_f32_e32 v1, v1, v47
	s_delay_alu instid0(VALU_DEP_4) | instskip(SKIP_1) | instid1(VALU_DEP_4)
	v_fmamk_f32 v166, v121, 0xbf59a7d5, v157
	v_fmac_f32_e32 v148, 0xbf2c7751, v100
	v_add_f32_e32 v128, v134, v128
	s_delay_alu instid0(VALU_DEP_4) | instskip(SKIP_1) | instid1(VALU_DEP_2)
	v_dual_fmamk_f32 v134, v114, 0xbf763a35, v161 :: v_dual_add_f32 v1, v3, v1
	v_dual_add_f32 v159, v162, v159 :: v_dual_fmamk_f32 v162, v103, 0xbf1a4643, v163
	v_dual_fmac_f32 v141, 0x3f763a35, v107 :: v_dual_add_f32 v128, v134, v128
	s_delay_alu instid0(VALU_DEP_3) | instskip(SKIP_1) | instid1(VALU_DEP_4)
	v_add_f32_e32 v1, v86, v1
	v_add_f32_e32 v134, v166, v126
	v_dual_add_f32 v159, v162, v159 :: v_dual_fmamk_f32 v162, v105, 0xbf7ba420, v165
	v_fmac_f32_e32 v152, 0xbf7ee86f, v102
	v_add_f32_e32 v126, v167, v128
	v_mul_f32_e32 v166, 0x3f6eb680, v139
	s_delay_alu instid0(VALU_DEP_4) | instskip(SKIP_2) | instid1(VALU_DEP_4)
	v_dual_fmac_f32 v155, 0xbf4c4adb, v104 :: v_dual_add_f32 v128, v162, v159
	v_fmamk_f32 v159, v109, 0xbf59a7d5, v168
	v_mul_f32_e32 v162, 0x3f763a35, v125
	v_fmamk_f32 v171, v122, 0xbeb8f4ab, v166
	v_fmac_f32_e32 v158, 0xbe3c28d5, v107
	v_fmamk_f32 v172, v117, 0x3ee437d1, v169
	s_delay_alu instid0(VALU_DEP_4) | instskip(SKIP_3) | instid1(VALU_DEP_4)
	v_dual_add_f32 v128, v159, v128 :: v_dual_fmamk_f32 v159, v113, 0xbe8c1d8e, v162
	v_mul_f32_e32 v111, 0x3f6eb680, v111
	v_fmac_f32_e32 v161, 0x3f763a35, v114
	v_fmac_f32_e32 v66, 0xbf06c442, v118
	v_dual_mul_f32 v60, 0xbf1a4643, v127 :: v_dual_add_f32 v159, v159, v128
	s_delay_alu instid0(VALU_DEP_4) | instskip(SKIP_2) | instid1(VALU_DEP_4)
	v_dual_add_f32 v128, v171, v126 :: v_dual_fmamk_f32 v167, v100, 0x3eb8f4ab, v111
	v_fmac_f32_e32 v111, 0xbeb8f4ab, v100
	v_add_f32_e32 v48, v50, v48
	v_add_f32_e32 v126, v172, v159
	v_fmamk_f32 v50, v113, 0xbf1a4643, v51
	v_fmac_f32_e32 v53, 0xbe3c28d5, v122
	v_fmac_f32_e32 v136, 0xbf65296c, v100
	s_delay_alu instid0(VALU_DEP_4) | instskip(SKIP_2) | instid1(VALU_DEP_4)
	v_dual_add_f32 v44, v44, v48 :: v_dual_add_f32 v127, v63, v126
	v_fmamk_f32 v63, v99, 0x3f6eb680, v65
	v_add_f32_e32 v167, v57, v167
	v_add_f32_e32 v3, v57, v136
	s_delay_alu instid0(VALU_DEP_4) | instskip(NEXT) | instid1(VALU_DEP_4)
	v_add_f32_e32 v44, v46, v44
	v_dual_fmac_f32 v132, 0xbf4c4adb, v102 :: v_dual_add_f32 v63, v56, v63
	v_fmac_f32_e32 v138, 0x3e3c28d5, v104
	v_fmac_f32_e32 v142, 0x3f2c7751, v110
	s_delay_alu instid0(VALU_DEP_4) | instskip(NEXT) | instid1(VALU_DEP_4)
	v_add_f32_e32 v0, v0, v44
	v_dual_fmac_f32 v144, 0xbeb8f4ab, v114 :: v_dual_add_f32 v63, v67, v63
	v_dual_mul_f32 v67, 0xbf7ee86f, v116 :: v_dual_fmac_f32 v146, 0xbf7ee86f, v118
	s_delay_alu instid0(VALU_DEP_3) | instskip(SKIP_1) | instid1(VALU_DEP_3)
	v_add_f32_e32 v0, v2, v0
	v_add_f32_e32 v2, v132, v3
	v_dual_add_f32 v55, v59, v63 :: v_dual_fmamk_f32 v58, v105, 0x3dbcf732, v67
	v_mul_f32_e32 v59, 0xbf763a35, v120
	v_fmamk_f32 v62, v114, 0x3f4c4adb, v60
	s_delay_alu instid0(VALU_DEP_4) | instskip(SKIP_1) | instid1(VALU_DEP_4)
	v_add_f32_e32 v2, v138, v2
	v_fmac_f32_e32 v164, 0x3f65296c, v118
	v_dual_add_f32 v54, v58, v55 :: v_dual_fmamk_f32 v55, v109, 0xbe8c1d8e, v59
	v_fmac_f32_e32 v60, 0xbf4c4adb, v114
	s_delay_alu instid0(VALU_DEP_4) | instskip(SKIP_3) | instid1(VALU_DEP_4)
	v_add_f32_e32 v2, v141, v2
	v_fma_f32 v51, 0xbf1a4643, v113, -v51
	v_add_f32_e32 v0, v85, v0
	v_dual_add_f32 v54, v55, v54 :: v_dual_mul_f32 v55, 0xbf06c442, v129
	v_add_f32_e32 v2, v142, v2
	v_fmac_f32_e32 v115, 0xbf2c7751, v102
	s_delay_alu instid0(VALU_DEP_3) | instskip(SKIP_1) | instid1(VALU_DEP_4)
	v_dual_add_f32 v48, v50, v54 :: v_dual_fmamk_f32 v49, v117, 0xbf59a7d5, v55
	v_mul_f32_e32 v50, 0xbe3c28d5, v137
	v_add_f32_e32 v2, v144, v2
	v_fmac_f32_e32 v154, 0x3f06c442, v110
	v_fma_f32 v54, 0x3f3d2fb0, v101, -v64
	v_add_f32_e32 v46, v49, v48
	s_delay_alu instid0(VALU_DEP_4) | instskip(SKIP_2) | instid1(VALU_DEP_3)
	v_dual_fmamk_f32 v47, v121, 0xbf7ba420, v50 :: v_dual_add_f32 v2, v146, v2
	v_fma_f32 v48, 0x3dbcf732, v117, -v153
	v_fma_f32 v50, 0xbf7ba420, v121, -v50
	v_dual_add_f32 v44, v47, v46 :: v_dual_add_f32 v47, v57, v148
	s_delay_alu instid0(VALU_DEP_1) | instskip(NEXT) | instid1(VALU_DEP_1)
	v_add_f32_e32 v47, v152, v47
	v_add_f32_e32 v47, v155, v47
	;; [unrolled: 1-line block ×3, first 2 shown]
	v_fma_f32 v46, 0x3ee437d1, v99, -v140
	s_delay_alu instid0(VALU_DEP_3) | instskip(NEXT) | instid1(VALU_DEP_2)
	v_dual_add_f32 v47, v158, v47 :: v_dual_fmamk_f32 v170, v104, 0x3f65296c, v119
	v_add_f32_e32 v3, v56, v46
	v_fma_f32 v46, 0xbf1a4643, v101, -v143
	v_fmac_f32_e32 v119, 0xbf65296c, v104
	s_delay_alu instid0(VALU_DEP_4)
	v_add_f32_e32 v47, v154, v47
	v_add_f32_e32 v159, v170, v167
	v_fmamk_f32 v167, v107, 0x3f7ee86f, v123
	v_add_f32_e32 v3, v46, v3
	v_fma_f32 v46, 0xbf7ba420, v103, -v145
	v_add_f32_e32 v47, v161, v47
	v_fmac_f32_e32 v123, 0xbf7ee86f, v107
	v_add_f32_e32 v159, v167, v159
	s_delay_alu instid0(VALU_DEP_4) | instskip(SKIP_1) | instid1(VALU_DEP_1)
	v_add_f32_e32 v3, v46, v3
	v_fma_f32 v46, 0xbe8c1d8e, v105, -v147
	v_add_f32_e32 v3, v46, v3
	v_fma_f32 v46, 0x3f3d2fb0, v109, -v150
	s_delay_alu instid0(VALU_DEP_1) | instskip(SKIP_1) | instid1(VALU_DEP_1)
	v_add_f32_e32 v3, v46, v3
	v_fma_f32 v46, 0x3f6eb680, v113, -v149
	v_dual_add_f32 v46, v46, v3 :: v_dual_add_f32 v3, v151, v2
	v_fma_f32 v2, 0x3f3d2fb0, v99, -v156
	v_mul_f32_e32 v124, 0xbe8c1d8e, v124
	v_fmac_f32_e32 v166, 0x3eb8f4ab, v122
	s_delay_alu instid0(VALU_DEP_4) | instskip(SKIP_4) | instid1(VALU_DEP_4)
	v_add_f32_e32 v46, v48, v46
	v_fma_f32 v48, 0xbf59a7d5, v121, -v157
	v_add_f32_e32 v49, v56, v2
	v_fmamk_f32 v167, v110, 0x3f763a35, v124
	v_fmac_f32_e32 v124, 0xbf763a35, v110
	v_add_f32_e32 v2, v48, v46
	v_add_f32_e32 v46, v164, v47
	s_delay_alu instid0(VALU_DEP_4) | instskip(SKIP_1) | instid1(VALU_DEP_2)
	v_add_f32_e32 v159, v167, v159
	v_fma_f32 v47, 0x3f6eb680, v99, -v65
	v_add_f32_e32 v62, v62, v159
	s_delay_alu instid0(VALU_DEP_1) | instskip(NEXT) | instid1(VALU_DEP_1)
	v_dual_add_f32 v47, v56, v47 :: v_dual_add_f32 v62, v69, v62
	v_add_f32_e32 v47, v54, v47
	v_fma_f32 v54, 0x3ee437d1, v103, -v68
	s_delay_alu instid0(VALU_DEP_3) | instskip(SKIP_1) | instid1(VALU_DEP_3)
	v_add_f32_e32 v45, v52, v62
	v_fma_f32 v52, 0x3dbcf732, v101, -v160
	v_add_f32_e32 v47, v54, v47
	v_fma_f32 v54, 0x3dbcf732, v105, -v67
	s_delay_alu instid0(VALU_DEP_3) | instskip(SKIP_2) | instid1(VALU_DEP_4)
	v_add_f32_e32 v48, v52, v49
	v_fma_f32 v49, 0xbf1a4643, v103, -v163
	v_add_f32_e32 v52, v57, v111
	v_add_f32_e32 v47, v54, v47
	v_fma_f32 v54, 0xbe8c1d8e, v109, -v59
	s_delay_alu instid0(VALU_DEP_4) | instskip(SKIP_1) | instid1(VALU_DEP_3)
	v_add_f32_e32 v48, v49, v48
	v_fma_f32 v49, 0xbf7ba420, v105, -v165
	v_dual_add_f32 v52, v115, v52 :: v_dual_add_f32 v47, v54, v47
	v_and_b32_e32 v54, 0xffff, v95
	s_delay_alu instid0(VALU_DEP_3) | instskip(SKIP_1) | instid1(VALU_DEP_4)
	v_add_f32_e32 v48, v49, v48
	v_fma_f32 v49, 0xbf59a7d5, v109, -v168
	v_add_f32_e32 v52, v119, v52
	v_add_f32_e32 v47, v51, v47
	v_fma_f32 v51, 0xbf59a7d5, v117, -v55
	v_lshlrev_b32_e32 v54, 3, v54
	v_add_f32_e32 v48, v49, v48
	v_fma_f32 v49, 0xbe8c1d8e, v113, -v162
	v_add_f32_e32 v52, v123, v52
	v_add_f32_e32 v51, v51, v47
	s_delay_alu instid0(VALU_DEP_3) | instskip(SKIP_1) | instid1(VALU_DEP_4)
	v_dual_add_f32 v47, v166, v46 :: v_dual_add_f32 v48, v49, v48
	v_fma_f32 v49, 0x3ee437d1, v117, -v169
	v_add_f32_e32 v52, v124, v52
	s_delay_alu instid0(VALU_DEP_2) | instskip(NEXT) | instid1(VALU_DEP_2)
	v_add_f32_e32 v48, v49, v48
	v_add_f32_e32 v49, v60, v52
	v_fma_f32 v52, 0x3f6eb680, v121, -v61
	s_delay_alu instid0(VALU_DEP_1) | instskip(NEXT) | instid1(VALU_DEP_1)
	v_dual_add_f32 v49, v66, v49 :: v_dual_add_f32 v46, v52, v48
	v_dual_add_f32 v48, v50, v51 :: v_dual_add_f32 v49, v53, v49
	ds_store_2addr_b64 v54, v[0:1], v[44:45] offset1:1
	ds_store_2addr_b64 v54, v[127:128], v[134:135] offset0:2 offset1:3
	ds_store_2addr_b64 v54, v[130:131], v[91:92] offset0:4 offset1:5
	;; [unrolled: 1-line block ×7, first 2 shown]
	ds_store_b64 v54, v[48:49] offset:128
.LBB0_17:
	s_wait_alu 0xfffe
	s_or_b32 exec_lo, exec_lo, s1
	v_add_nc_u32_e32 v54, 0x800, v93
	v_add_nc_u32_e32 v55, 0x1000, v93
	global_wb scope:SCOPE_SE
	s_wait_dscnt 0x0
	s_barrier_signal -1
	s_barrier_wait -1
	global_inv scope:SCOPE_SE
	ds_load_2addr_b64 v[0:3], v93 offset1:153
	ds_load_2addr_b64 v[48:51], v54 offset0:50 offset1:203
	ds_load_2addr_b64 v[44:47], v55 offset0:100 offset1:253
	ds_load_b64 v[52:53], v93 offset:7344
	s_and_saveexec_b32 s1, s0
	s_cbranch_execz .LBB0_19
; %bb.18:
	v_add_nc_u32_e32 v56, 0x1a00, v93
	ds_load_b64 v[87:88], v93 offset:952
	ds_load_2addr_b64 v[80:83], v54 offset0:16 offset1:169
	ds_load_2addr_b64 v[76:79], v55 offset0:66 offset1:219
	;; [unrolled: 1-line block ×3, first 2 shown]
.LBB0_19:
	s_wait_alu 0xfffe
	s_or_b32 exec_lo, exec_lo, s1
	s_wait_dscnt 0x2
	v_dual_mul_f32 v54, v25, v3 :: v_dual_mul_f32 v55, v27, v49
	v_mul_f32_e32 v25, v25, v2
	v_mul_f32_e32 v27, v27, v48
	global_wb scope:SCOPE_SE
	s_wait_dscnt 0x0
	v_dual_fmac_f32 v54, v24, v2 :: v_dual_fmac_f32 v55, v26, v48
	v_fma_f32 v2, v24, v3, -v25
	v_dual_mul_f32 v24, v23, v45 :: v_dual_mul_f32 v3, v21, v51
	v_mul_f32_e32 v21, v21, v50
	v_fma_f32 v25, v26, v49, -v27
	v_mul_f32_e32 v26, v17, v47
	s_delay_alu instid0(VALU_DEP_4) | instskip(SKIP_2) | instid1(VALU_DEP_3)
	v_dual_mul_f32 v17, v17, v46 :: v_dual_fmac_f32 v24, v22, v44
	v_mul_f32_e32 v23, v23, v44
	s_barrier_signal -1
	v_fmac_f32_e32 v26, v16, v46
	s_delay_alu instid0(VALU_DEP_3)
	v_fma_f32 v16, v16, v47, -v17
	v_fmac_f32_e32 v3, v20, v50
	v_fma_f32 v20, v20, v51, -v21
	v_mul_f32_e32 v21, v19, v53
	v_mul_f32_e32 v19, v19, v52
	s_barrier_wait -1
	global_inv scope:SCOPE_SE
	v_fmac_f32_e32 v21, v18, v52
	v_fma_f32 v18, v18, v53, -v19
	v_fma_f32 v19, v22, v45, -v23
	s_delay_alu instid0(VALU_DEP_2) | instskip(SKIP_4) | instid1(VALU_DEP_3)
	v_add_f32_e32 v22, v2, v18
	v_sub_f32_e32 v2, v2, v18
	v_dual_add_f32 v18, v55, v26 :: v_dual_add_f32 v17, v54, v21
	v_dual_sub_f32 v26, v55, v26 :: v_dual_add_f32 v23, v25, v16
	v_sub_f32_e32 v16, v25, v16
	v_sub_f32_e32 v44, v18, v17
	;; [unrolled: 1-line block ×3, first 2 shown]
	v_add_f32_e32 v25, v3, v24
	v_dual_sub_f32 v3, v24, v3 :: v_dual_add_f32 v24, v23, v22
	s_delay_alu instid0(VALU_DEP_1) | instskip(SKIP_4) | instid1(VALU_DEP_3)
	v_add_f32_e32 v46, v3, v26
	v_sub_f32_e32 v48, v3, v26
	v_dual_sub_f32 v26, v26, v21 :: v_dual_add_f32 v27, v20, v19
	v_dual_sub_f32 v19, v19, v20 :: v_dual_add_f32 v20, v18, v17
	v_sub_f32_e32 v18, v25, v18
	v_dual_sub_f32 v17, v17, v25 :: v_dual_add_f32 v24, v27, v24
	s_delay_alu instid0(VALU_DEP_3) | instskip(NEXT) | instid1(VALU_DEP_4)
	v_add_f32_e32 v47, v19, v16
	v_dual_add_f32 v20, v25, v20 :: v_dual_sub_f32 v45, v23, v22
	v_sub_f32_e32 v22, v22, v27
	v_sub_f32_e32 v23, v27, v23
	s_delay_alu instid0(VALU_DEP_3) | instskip(NEXT) | instid1(VALU_DEP_3)
	v_dual_sub_f32 v3, v21, v3 :: v_dual_add_f32 v0, v0, v20
	v_dual_sub_f32 v49, v19, v16 :: v_dual_mul_f32 v22, 0x3f4a47b2, v22
	s_delay_alu instid0(VALU_DEP_3) | instskip(SKIP_2) | instid1(VALU_DEP_4)
	v_dual_mul_f32 v27, 0x3d64c772, v23 :: v_dual_sub_f32 v16, v16, v2
	v_sub_f32_e32 v19, v2, v19
	v_add_f32_e32 v21, v46, v21
	v_fmamk_f32 v23, v23, 0x3d64c772, v22
	v_mul_f32_e32 v17, 0x3f4a47b2, v17
	v_dual_add_f32 v1, v1, v24 :: v_dual_fmamk_f32 v20, v20, 0xbf955555, v0
	v_mul_f32_e32 v46, 0x3f08b237, v48
	v_fma_f32 v22, 0xbf3bfb3b, v45, -v22
	s_delay_alu instid0(VALU_DEP_4) | instskip(NEXT) | instid1(VALU_DEP_4)
	v_dual_mul_f32 v25, 0x3d64c772, v18 :: v_dual_fmamk_f32 v18, v18, 0x3d64c772, v17
	v_fmamk_f32 v24, v24, 0xbf955555, v1
	v_mul_f32_e32 v48, 0xbf5ff5aa, v26
	v_dual_add_f32 v2, v47, v2 :: v_dual_mul_f32 v47, 0x3f08b237, v49
	s_delay_alu instid0(VALU_DEP_4)
	v_fma_f32 v25, 0x3f3bfb3b, v44, -v25
	v_fma_f32 v27, 0x3f3bfb3b, v45, -v27
	;; [unrolled: 1-line block ×3, first 2 shown]
	v_add_f32_e32 v50, v23, v24
	v_fma_f32 v17, 0xbf3bfb3b, v44, -v17
	v_dual_fmamk_f32 v44, v3, 0xbeae86e6, v46 :: v_dual_add_f32 v23, v25, v20
	v_fma_f32 v46, 0xbf5ff5aa, v16, -v47
	v_add_f32_e32 v25, v27, v24
	s_delay_alu instid0(VALU_DEP_4)
	v_dual_add_f32 v27, v17, v20 :: v_dual_fmac_f32 v26, 0xbee1c552, v21
	v_mul_f32_e32 v49, 0xbf5ff5aa, v16
	v_fmac_f32_e32 v44, 0xbee1c552, v21
	v_fmac_f32_e32 v46, 0xbee1c552, v2
	v_fmamk_f32 v45, v19, 0xbeae86e6, v47
	v_fma_f32 v47, 0x3eae86e6, v3, -v48
	v_fma_f32 v48, 0x3eae86e6, v19, -v49
	v_add_f32_e32 v49, v18, v20
	v_sub_f32_e32 v3, v50, v44
	s_delay_alu instid0(VALU_DEP_4) | instskip(NEXT) | instid1(VALU_DEP_4)
	v_dual_add_f32 v20, v46, v23 :: v_dual_fmac_f32 v47, 0xbee1c552, v21
	v_fmac_f32_e32 v48, 0xbee1c552, v2
	v_dual_fmac_f32 v45, 0xbee1c552, v2 :: v_dual_add_f32 v24, v22, v24
	v_dual_sub_f32 v18, v23, v46 :: v_dual_add_f32 v19, v26, v25
	s_delay_alu instid0(VALU_DEP_3) | instskip(NEXT) | instid1(VALU_DEP_3)
	v_sub_f32_e32 v22, v27, v48
	v_add_f32_e32 v2, v45, v49
	v_add_f32_e32 v16, v48, v27
	v_sub_f32_e32 v17, v24, v47
	v_sub_f32_e32 v21, v25, v26
	v_dual_add_f32 v23, v47, v24 :: v_dual_sub_f32 v24, v49, v45
	v_add_f32_e32 v25, v44, v50
	ds_store_2addr_b64 v97, v[0:1], v[2:3] offset1:17
	ds_store_2addr_b64 v97, v[16:17], v[18:19] offset0:34 offset1:51
	ds_store_2addr_b64 v97, v[20:21], v[22:23] offset0:68 offset1:85
	ds_store_b64 v97, v[24:25] offset:816
	s_and_saveexec_b32 s1, s0
	s_cbranch_execz .LBB0_21
; %bb.20:
	v_dual_mul_f32 v0, v9, v81 :: v_dual_mul_f32 v1, v7, v79
	v_dual_mul_f32 v2, v5, v77 :: v_dual_mul_f32 v3, v11, v83
	;; [unrolled: 1-line block ×3, first 2 shown]
	s_delay_alu instid0(VALU_DEP_2) | instskip(NEXT) | instid1(VALU_DEP_2)
	v_dual_fmac_f32 v1, v6, v78 :: v_dual_fmac_f32 v2, v4, v76
	v_dual_fmac_f32 v3, v10, v82 :: v_dual_fmac_f32 v16, v12, v72
	s_delay_alu instid0(VALU_DEP_3) | instskip(NEXT) | instid1(VALU_DEP_3)
	v_dual_fmac_f32 v0, v8, v80 :: v_dual_fmac_f32 v17, v14, v74
	v_sub_f32_e32 v18, v1, v2
	v_mul_f32_e32 v11, v11, v82
	s_delay_alu instid0(VALU_DEP_4)
	v_dual_sub_f32 v19, v3, v16 :: v_dual_add_f32 v16, v16, v3
	v_mul_f32_e32 v5, v5, v76
	v_dual_mul_f32 v7, v7, v78 :: v_dual_add_f32 v2, v2, v1
	v_dual_mul_f32 v15, v15, v74 :: v_dual_sub_f32 v20, v0, v17
	v_fma_f32 v10, v10, v83, -v11
	v_add_f32_e32 v11, v18, v19
	v_fma_f32 v4, v4, v77, -v5
	v_fma_f32 v5, v6, v79, -v7
	v_fma_f32 v14, v14, v75, -v15
	v_add_f32_e32 v17, v17, v0
	v_add_f32_e32 v7, v11, v20
	s_delay_alu instid0(VALU_DEP_4) | instskip(SKIP_2) | instid1(VALU_DEP_2)
	v_dual_add_f32 v11, v4, v5 :: v_dual_sub_f32 v4, v5, v4
	v_mul_f32_e32 v9, v9, v80
	v_mul_f32_e32 v13, v13, v72
	v_fma_f32 v8, v8, v81, -v9
	s_delay_alu instid0(VALU_DEP_2) | instskip(SKIP_4) | instid1(VALU_DEP_4)
	v_fma_f32 v9, v12, v73, -v13
	v_sub_f32_e32 v21, v18, v19
	v_sub_f32_e32 v15, v20, v18
	;; [unrolled: 1-line block ×3, first 2 shown]
	v_add_f32_e32 v12, v14, v8
	v_dual_add_f32 v6, v9, v10 :: v_dual_mul_f32 v21, 0x3f08b237, v21
	v_dual_sub_f32 v5, v10, v9 :: v_dual_sub_f32 v8, v8, v14
	s_delay_alu instid0(VALU_DEP_3) | instskip(NEXT) | instid1(VALU_DEP_3)
	v_sub_f32_e32 v22, v12, v11
	v_add_f32_e32 v18, v6, v12
	v_sub_f32_e32 v0, v11, v6
	s_delay_alu instid0(VALU_DEP_4) | instskip(NEXT) | instid1(VALU_DEP_3)
	v_dual_sub_f32 v10, v4, v5 :: v_dual_fmamk_f32 v13, v15, 0xbeae86e6, v21
	v_dual_sub_f32 v25, v8, v4 :: v_dual_add_f32 v18, v11, v18
	v_mul_f32_e32 v11, 0x3f4a47b2, v22
	s_delay_alu instid0(VALU_DEP_4) | instskip(NEXT) | instid1(VALU_DEP_4)
	v_mul_f32_e32 v22, 0x3d64c772, v0
	v_mul_f32_e32 v10, 0x3f08b237, v10
	v_add_f32_e32 v4, v4, v5
	s_delay_alu instid0(VALU_DEP_4) | instskip(SKIP_1) | instid1(VALU_DEP_1)
	v_fmamk_f32 v23, v0, 0x3d64c772, v11
	v_dual_add_f32 v3, v16, v17 :: v_dual_sub_f32 v0, v17, v2
	v_add_f32_e32 v3, v2, v3
	s_delay_alu instid0(VALU_DEP_2) | instskip(SKIP_1) | instid1(VALU_DEP_3)
	v_mul_f32_e32 v9, 0x3f4a47b2, v0
	v_sub_f32_e32 v2, v2, v16
	v_dual_add_f32 v0, v87, v3 :: v_dual_add_f32 v1, v88, v18
	s_delay_alu instid0(VALU_DEP_1) | instskip(NEXT) | instid1(VALU_DEP_2)
	v_fmamk_f32 v24, v3, 0xbf955555, v0
	v_dual_fmamk_f32 v18, v18, 0xbf955555, v1 :: v_dual_sub_f32 v5, v5, v8
	v_dual_add_f32 v4, v4, v8 :: v_dual_fmac_f32 v13, 0xbee1c552, v7
	s_delay_alu instid0(VALU_DEP_2) | instskip(NEXT) | instid1(VALU_DEP_3)
	v_add_f32_e32 v14, v23, v18
	v_mul_f32_e32 v8, 0xbf5ff5aa, v5
	v_mul_f32_e32 v26, 0xbf5ff5aa, v19
	v_dual_fmamk_f32 v23, v2, 0x3d64c772, v9 :: v_dual_mul_f32 v2, 0x3d64c772, v2
	s_delay_alu instid0(VALU_DEP_2)
	v_fma_f32 v15, 0x3eae86e6, v15, -v26
	v_sub_f32_e32 v6, v6, v12
	v_sub_f32_e32 v12, v16, v17
	v_fma_f32 v16, 0x3eae86e6, v25, -v8
	v_fma_f32 v8, 0xbf5ff5aa, v19, -v21
	v_fmac_f32_e32 v15, 0xbee1c552, v7
	v_fma_f32 v11, 0xbf3bfb3b, v6, -v11
	v_fma_f32 v6, 0x3f3bfb3b, v6, -v22
	v_dual_add_f32 v3, v13, v14 :: v_dual_add_f32 v20, v23, v24
	v_fmamk_f32 v23, v25, 0xbeae86e6, v10
	v_fma_f32 v9, 0xbf3bfb3b, v12, -v9
	s_delay_alu instid0(VALU_DEP_4) | instskip(SKIP_4) | instid1(VALU_DEP_4)
	v_add_f32_e32 v6, v6, v18
	v_add_f32_e32 v11, v11, v18
	v_fma_f32 v2, 0x3f3bfb3b, v12, -v2
	v_fmac_f32_e32 v8, 0xbee1c552, v7
	v_fma_f32 v19, 0xbf5ff5aa, v5, -v10
	v_dual_fmac_f32 v16, 0xbee1c552, v4 :: v_dual_add_f32 v5, v15, v11
	s_delay_alu instid0(VALU_DEP_4) | instskip(NEXT) | instid1(VALU_DEP_4)
	v_add_f32_e32 v2, v2, v24
	v_sub_f32_e32 v7, v6, v8
	s_delay_alu instid0(VALU_DEP_4)
	v_fmac_f32_e32 v19, 0xbee1c552, v4
	v_add_f32_e32 v17, v9, v24
	v_add_f32_e32 v9, v8, v6
	v_mul_u32_u24_e32 v6, 0x77, v98
	v_sub_f32_e32 v13, v14, v13
	v_sub_f32_e32 v11, v11, v15
	s_delay_alu instid0(VALU_DEP_3) | instskip(SKIP_4) | instid1(VALU_DEP_3)
	v_add_lshl_u32 v14, v6, v96, 3
	v_add_f32_e32 v6, v19, v2
	v_dual_add_f32 v10, v16, v17 :: v_dual_fmac_f32 v23, 0xbee1c552, v4
	v_sub_f32_e32 v8, v2, v19
	v_sub_f32_e32 v4, v17, v16
	v_add_f32_e32 v12, v23, v20
	v_sub_f32_e32 v2, v20, v23
	ds_store_2addr_b64 v14, v[0:1], v[12:13] offset1:17
	ds_store_2addr_b64 v14, v[10:11], v[8:9] offset0:34 offset1:51
	ds_store_2addr_b64 v14, v[6:7], v[4:5] offset0:68 offset1:85
	ds_store_b64 v14, v[2:3] offset:816
.LBB0_21:
	s_wait_alu 0xfffe
	s_or_b32 exec_lo, exec_lo, s1
	global_wb scope:SCOPE_SE
	s_wait_dscnt 0x0
	s_barrier_signal -1
	s_barrier_wait -1
	global_inv scope:SCOPE_SE
	ds_load_2addr_b64 v[3:6], v93 offset0:119 offset1:238
	v_add_nc_u32_e32 v2, 0x800, v93
	v_add_nc_u32_e32 v1, 0x1000, v93
	s_wait_dscnt 0x0
	v_dual_mul_f32 v23, v43, v6 :: v_dual_add_nc_u32 v0, 0x1800, v93
	v_mul_f32_e32 v21, v41, v4
	v_mul_f32_e32 v22, v41, v3
	ds_load_2addr_b64 v[7:10], v2 offset0:101 offset1:220
	ds_load_2addr_b64 v[11:14], v1 offset0:83 offset1:202
	;; [unrolled: 1-line block ×3, first 2 shown]
	v_dual_mul_f32 v24, v43, v5 :: v_dual_fmac_f32 v21, v40, v3
	v_fma_f32 v3, v40, v4, -v22
	v_fmac_f32_e32 v23, v42, v5
	ds_load_b64 v[19:20], v93
	v_fma_f32 v4, v42, v6, -v24
	s_wait_dscnt 0x3
	v_mul_f32_e32 v6, v37, v7
	v_dual_mul_f32 v5, v37, v8 :: v_dual_mul_f32 v22, v39, v10
	s_wait_dscnt 0x2
	v_dual_mul_f32 v24, v39, v9 :: v_dual_mul_f32 v25, v33, v12
	v_dual_mul_f32 v26, v33, v11 :: v_dual_mul_f32 v27, v35, v14
	s_delay_alu instid0(VALU_DEP_3) | instskip(NEXT) | instid1(VALU_DEP_3)
	v_dual_fmac_f32 v5, v36, v7 :: v_dual_fmac_f32 v22, v38, v9
	v_fma_f32 v24, v38, v10, -v24
	s_wait_dscnt 0x1
	s_delay_alu instid0(VALU_DEP_3) | instskip(SKIP_3) | instid1(VALU_DEP_3)
	v_dual_mul_f32 v10, v29, v16 :: v_dual_fmac_f32 v27, v34, v13
	v_mul_f32_e32 v7, v31, v18
	v_fma_f32 v6, v36, v8, -v6
	v_dual_fmac_f32 v25, v32, v11 :: v_dual_mul_f32 v8, v31, v17
	v_dual_fmac_f32 v10, v28, v15 :: v_dual_fmac_f32 v7, v30, v17
	v_mul_f32_e32 v9, v35, v13
	v_fma_f32 v26, v32, v12, -v26
	s_delay_alu instid0(VALU_DEP_4) | instskip(NEXT) | instid1(VALU_DEP_4)
	v_fma_f32 v8, v30, v18, -v8
	v_sub_f32_e32 v17, v23, v10
	v_sub_f32_e32 v13, v21, v7
	v_mul_f32_e32 v11, v29, v15
	s_delay_alu instid0(VALU_DEP_2) | instskip(NEXT) | instid1(VALU_DEP_2)
	v_dual_sub_f32 v15, v3, v8 :: v_dual_mul_f32 v12, 0x3f248dbb, v13
	v_fma_f32 v11, v28, v16, -v11
	v_sub_f32_e32 v28, v5, v27
	s_delay_alu instid0(VALU_DEP_2)
	v_sub_f32_e32 v18, v4, v11
	v_add_f32_e32 v16, v21, v7
	v_fma_f32 v9, v34, v14, -v9
	v_add_f32_e32 v21, v3, v8
	v_dual_mul_f32 v7, 0x3f248dbb, v15 :: v_dual_sub_f32 v14, v22, v25
	v_add_f32_e32 v30, v4, v11
	s_delay_alu instid0(VALU_DEP_4)
	v_dual_add_f32 v32, v6, v9 :: v_dual_add_f32 v23, v23, v10
	s_wait_dscnt 0x0
	v_fmamk_f32 v4, v21, 0x3f441b7d, v20
	v_fmac_f32_e32 v12, 0x3f7c1c5c, v17
	v_sub_f32_e32 v29, v6, v9
	v_add_f32_e32 v27, v5, v27
	v_dual_add_f32 v33, v22, v25 :: v_dual_mul_f32 v10, 0xbf248dbb, v14
	v_fmac_f32_e32 v4, 0x3e31d0d4, v30
	v_fmac_f32_e32 v7, 0x3f7c1c5c, v18
	;; [unrolled: 1-line block ×3, first 2 shown]
	v_add_f32_e32 v34, v24, v26
	s_delay_alu instid0(VALU_DEP_4) | instskip(NEXT) | instid1(VALU_DEP_4)
	v_dual_fmamk_f32 v3, v16, 0x3f441b7d, v19 :: v_dual_fmac_f32 v4, -0.5, v32
	v_fmac_f32_e32 v7, 0x3f5db3d7, v29
	v_dual_sub_f32 v31, v24, v26 :: v_dual_fmamk_f32 v6, v33, 0x3f441b7d, v19
	s_delay_alu instid0(VALU_DEP_4) | instskip(NEXT) | instid1(VALU_DEP_4)
	v_fmamk_f32 v8, v34, 0x3f441b7d, v20
	v_fmac_f32_e32 v3, 0x3e31d0d4, v23
	s_delay_alu instid0(VALU_DEP_3) | instskip(NEXT) | instid1(VALU_DEP_4)
	v_dual_fmac_f32 v12, 0x3eaf1d44, v14 :: v_dual_fmac_f32 v7, 0x3eaf1d44, v31
	v_fmac_f32_e32 v6, 0x3e31d0d4, v16
	s_delay_alu instid0(VALU_DEP_3) | instskip(SKIP_1) | instid1(VALU_DEP_3)
	v_dual_fmac_f32 v4, 0xbf708fb2, v34 :: v_dual_fmac_f32 v3, -0.5, v27
	v_fmac_f32_e32 v10, 0x3f7c1c5c, v13
	v_dual_add_f32 v11, v14, v13 :: v_dual_fmac_f32 v6, -0.5, v27
	v_add_f32_e32 v35, v30, v21
	s_delay_alu instid0(VALU_DEP_4) | instskip(SKIP_3) | instid1(VALU_DEP_4)
	v_fmac_f32_e32 v3, 0xbf708fb2, v33
	v_fmac_f32_e32 v8, 0x3e31d0d4, v21
	;; [unrolled: 1-line block ×4, first 2 shown]
	v_dual_add_f32 v4, v12, v4 :: v_dual_sub_f32 v3, v3, v7
	s_delay_alu instid0(VALU_DEP_4) | instskip(NEXT) | instid1(VALU_DEP_2)
	v_dual_mul_f32 v9, 0xbf248dbb, v31 :: v_dual_fmac_f32 v8, -0.5, v32
	v_fma_f32 v5, 2.0, v7, v3
	s_delay_alu instid0(VALU_DEP_2) | instskip(NEXT) | instid1(VALU_DEP_1)
	v_fmac_f32_e32 v9, 0x3f7c1c5c, v15
	v_fmac_f32_e32 v9, 0xbf5db3d7, v29
	s_delay_alu instid0(VALU_DEP_1) | instskip(NEXT) | instid1(VALU_DEP_1)
	v_fmac_f32_e32 v9, 0x3eaf1d44, v18
	v_dual_fmac_f32 v8, 0xbf708fb2, v30 :: v_dual_sub_f32 v7, v6, v9
	v_fma_f32 v6, -2.0, v12, v4
	v_add_f32_e32 v12, v31, v15
	v_dual_fmac_f32 v10, 0x3eaf1d44, v17 :: v_dual_add_f32 v37, v23, v16
	v_fmamk_f32 v23, v23, 0x3f441b7d, v19
	s_delay_alu instid0(VALU_DEP_3) | instskip(SKIP_1) | instid1(VALU_DEP_4)
	v_dual_mul_f32 v31, 0x3f7c1c5c, v31 :: v_dual_sub_f32 v38, v12, v18
	v_dual_sub_f32 v36, v11, v17 :: v_dual_add_f32 v11, v32, v35
	v_add_f32_e32 v8, v10, v8
	s_delay_alu instid0(VALU_DEP_3) | instskip(NEXT) | instid1(VALU_DEP_3)
	v_dual_add_f32 v40, v33, v37 :: v_dual_mul_f32 v41, 0x3f5db3d7, v38
	v_dual_mul_f32 v39, 0x3f5db3d7, v36 :: v_dual_add_f32 v24, v24, v11
	v_dual_add_f32 v11, v27, v19 :: v_dual_add_f32 v12, v32, v20
	v_fmac_f32_e32 v23, 0x3e31d0d4, v33
	v_fma_f32 v9, 2.0, v9, v7
	s_delay_alu instid0(VALU_DEP_4) | instskip(SKIP_2) | instid1(VALU_DEP_3)
	v_add_f32_e32 v24, v26, v24
	v_dual_add_f32 v26, v34, v35 :: v_dual_mul_f32 v35, 0x3f7c1c5c, v14
	v_fmac_f32_e32 v11, -0.5, v40
	v_dual_fmac_f32 v23, -0.5, v27 :: v_dual_add_f32 v14, v24, v20
	v_fmac_f32_e32 v20, 0x3f441b7d, v30
	s_delay_alu instid0(VALU_DEP_4) | instskip(SKIP_2) | instid1(VALU_DEP_4)
	v_fma_f32 v24, 0xbf248dbb, v17, -v35
	v_dual_add_f32 v17, v27, v37 :: v_dual_fmac_f32 v12, -0.5, v26
	v_fma_f32 v30, 0xbf248dbb, v18, -v31
	v_fmac_f32_e32 v20, 0x3e31d0d4, v34
	s_delay_alu instid0(VALU_DEP_4)
	v_fmac_f32_e32 v24, 0x3f5db3d7, v28
	v_fmac_f32_e32 v23, 0xbf708fb2, v16
	;; [unrolled: 1-line block ×4, first 2 shown]
	v_fma_f32 v10, -2.0, v10, v8
	v_fmac_f32_e32 v24, 0x3eaf1d44, v13
	v_dual_add_f32 v13, v22, v17 :: v_dual_fmac_f32 v20, -0.5, v32
	v_add_nc_u32_e32 v22, 0xc00, v93
	v_fma_f32 v17, 2.0, v41, v11
	v_fma_f32 v18, -2.0, v39, v12
	s_delay_alu instid0(VALU_DEP_4) | instskip(SKIP_3) | instid1(VALU_DEP_4)
	v_add_f32_e32 v13, v25, v13
	v_fmac_f32_e32 v30, 0x3f5db3d7, v29
	v_fmac_f32_e32 v20, 0xbf708fb2, v21
	v_add_nc_u32_e32 v21, 0x400, v93
	v_add_f32_e32 v13, v13, v19
	s_delay_alu instid0(VALU_DEP_4) | instskip(NEXT) | instid1(VALU_DEP_1)
	v_fmac_f32_e32 v30, 0x3eaf1d44, v15
	v_dual_sub_f32 v15, v23, v30 :: v_dual_add_f32 v16, v24, v20
	v_add_nc_u32_e32 v23, 0x1400, v93
	s_delay_alu instid0(VALU_DEP_2) | instskip(NEXT) | instid1(VALU_DEP_3)
	v_fma_f32 v19, 2.0, v30, v15
	v_fma_f32 v20, -2.0, v24, v16
	ds_store_b64 v93, v[13:14]
	ds_store_b64 v93, v[3:4] offset:952
	ds_store_2addr_b64 v21, v[7:8], v[11:12] offset0:110 offset1:229
	ds_store_2addr_b64 v22, v[15:16], v[19:20] offset0:92 offset1:211
	;; [unrolled: 1-line block ×3, first 2 shown]
	ds_store_b64 v93, v[5:6] offset:7616
	global_wb scope:SCOPE_SE
	s_wait_dscnt 0x0
	s_barrier_signal -1
	s_barrier_wait -1
	global_inv scope:SCOPE_SE
	s_and_b32 exec_lo, exec_lo, vcc_lo
	s_cbranch_execz .LBB0_23
; %bb.22:
	global_load_b64 v[3:4], v93, s[8:9]
	ds_load_b64 v[5:6], v93
	v_mad_co_u64_u32 v[9:10], null, s4, v94, 0
	s_mov_b32 s0, 0x1e98801f
	s_mov_b32 s1, 0x3f4e9880
	s_mul_u64 s[2:3], s[4:5], 0x1f8
	s_wait_loadcnt_dscnt 0x0
	v_mul_f32_e32 v7, v6, v4
	v_mul_f32_e32 v4, v5, v4
	s_delay_alu instid0(VALU_DEP_2) | instskip(NEXT) | instid1(VALU_DEP_2)
	v_fmac_f32_e32 v7, v5, v3
	v_fma_f32 v5, v3, v6, -v4
	s_delay_alu instid0(VALU_DEP_2) | instskip(NEXT) | instid1(VALU_DEP_2)
	v_cvt_f64_f32_e32 v[3:4], v7
	v_cvt_f64_f32_e32 v[5:6], v5
	v_mad_co_u64_u32 v[7:8], null, s6, v84, 0
	s_wait_alu 0xfffe
	s_delay_alu instid0(VALU_DEP_3) | instskip(NEXT) | instid1(VALU_DEP_3)
	v_mul_f64_e32 v[3:4], s[0:1], v[3:4]
	v_mul_f64_e32 v[5:6], s[0:1], v[5:6]
	s_delay_alu instid0(VALU_DEP_2) | instskip(NEXT) | instid1(VALU_DEP_2)
	v_cvt_f32_f64_e32 v3, v[3:4]
	v_cvt_f32_f64_e32 v4, v[5:6]
	v_dual_mov_b32 v6, v10 :: v_dual_mov_b32 v5, v8
	s_delay_alu instid0(VALU_DEP_1) | instskip(SKIP_1) | instid1(VALU_DEP_2)
	v_mad_co_u64_u32 v[10:11], null, s7, v84, v[5:6]
	v_mad_co_u64_u32 v[5:6], null, s5, v94, v[6:7]
	v_mov_b32_e32 v8, v10
	s_delay_alu instid0(VALU_DEP_2) | instskip(NEXT) | instid1(VALU_DEP_2)
	v_mov_b32_e32 v10, v5
	v_lshlrev_b64_e32 v[5:6], 3, v[7:8]
	s_delay_alu instid0(VALU_DEP_2) | instskip(NEXT) | instid1(VALU_DEP_2)
	v_lshlrev_b64_e32 v[7:8], 3, v[9:10]
	v_add_co_u32 v5, vcc_lo, s12, v5
	s_delay_alu instid0(VALU_DEP_3) | instskip(NEXT) | instid1(VALU_DEP_2)
	v_add_co_ci_u32_e32 v6, vcc_lo, s13, v6, vcc_lo
	v_add_co_u32 v7, vcc_lo, v5, v7
	s_wait_alu 0xfffd
	s_delay_alu instid0(VALU_DEP_2)
	v_add_co_ci_u32_e32 v8, vcc_lo, v6, v8, vcc_lo
	global_store_b64 v[7:8], v[3:4], off
	global_load_b64 v[9:10], v93, s[8:9] offset:504
	ds_load_2addr_b64 v[3:6], v93 offset0:63 offset1:126
	v_add_co_u32 v7, vcc_lo, v7, s2
	s_wait_alu 0xfffd
	v_add_co_ci_u32_e32 v8, vcc_lo, s3, v8, vcc_lo
	s_wait_loadcnt_dscnt 0x0
	v_mul_f32_e32 v11, v4, v10
	v_mul_f32_e32 v10, v3, v10
	s_delay_alu instid0(VALU_DEP_2) | instskip(NEXT) | instid1(VALU_DEP_2)
	v_fmac_f32_e32 v11, v3, v9
	v_fma_f32 v9, v9, v4, -v10
	s_delay_alu instid0(VALU_DEP_2) | instskip(NEXT) | instid1(VALU_DEP_2)
	v_cvt_f64_f32_e32 v[3:4], v11
	v_cvt_f64_f32_e32 v[9:10], v9
	s_delay_alu instid0(VALU_DEP_2) | instskip(NEXT) | instid1(VALU_DEP_2)
	v_mul_f64_e32 v[3:4], s[0:1], v[3:4]
	v_mul_f64_e32 v[9:10], s[0:1], v[9:10]
	s_delay_alu instid0(VALU_DEP_2) | instskip(NEXT) | instid1(VALU_DEP_2)
	v_cvt_f32_f64_e32 v3, v[3:4]
	v_cvt_f32_f64_e32 v4, v[9:10]
	global_store_b64 v[7:8], v[3:4], off
	global_load_b64 v[3:4], v93, s[8:9] offset:1008
	v_add_co_u32 v7, vcc_lo, v7, s2
	s_wait_alu 0xfffd
	v_add_co_ci_u32_e32 v8, vcc_lo, s3, v8, vcc_lo
	s_wait_loadcnt 0x0
	v_mul_f32_e32 v9, v6, v4
	v_mul_f32_e32 v4, v5, v4
	s_delay_alu instid0(VALU_DEP_2) | instskip(NEXT) | instid1(VALU_DEP_2)
	v_fmac_f32_e32 v9, v5, v3
	v_fma_f32 v5, v3, v6, -v4
	s_delay_alu instid0(VALU_DEP_2) | instskip(NEXT) | instid1(VALU_DEP_2)
	v_cvt_f64_f32_e32 v[3:4], v9
	v_cvt_f64_f32_e32 v[5:6], v5
	s_delay_alu instid0(VALU_DEP_2) | instskip(NEXT) | instid1(VALU_DEP_2)
	v_mul_f64_e32 v[3:4], s[0:1], v[3:4]
	v_mul_f64_e32 v[5:6], s[0:1], v[5:6]
	s_delay_alu instid0(VALU_DEP_2) | instskip(NEXT) | instid1(VALU_DEP_2)
	v_cvt_f32_f64_e32 v3, v[3:4]
	v_cvt_f32_f64_e32 v4, v[5:6]
	global_store_b64 v[7:8], v[3:4], off
	global_load_b64 v[9:10], v93, s[8:9] offset:1512
	ds_load_2addr_b64 v[3:6], v93 offset0:189 offset1:252
	v_add_co_u32 v7, vcc_lo, v7, s2
	s_wait_alu 0xfffd
	v_add_co_ci_u32_e32 v8, vcc_lo, s3, v8, vcc_lo
	s_wait_loadcnt_dscnt 0x0
	v_mul_f32_e32 v11, v4, v10
	v_mul_f32_e32 v10, v3, v10
	s_delay_alu instid0(VALU_DEP_2) | instskip(NEXT) | instid1(VALU_DEP_2)
	v_fmac_f32_e32 v11, v3, v9
	v_fma_f32 v9, v9, v4, -v10
	s_delay_alu instid0(VALU_DEP_2) | instskip(NEXT) | instid1(VALU_DEP_2)
	v_cvt_f64_f32_e32 v[3:4], v11
	v_cvt_f64_f32_e32 v[9:10], v9
	s_delay_alu instid0(VALU_DEP_2) | instskip(NEXT) | instid1(VALU_DEP_2)
	v_mul_f64_e32 v[3:4], s[0:1], v[3:4]
	v_mul_f64_e32 v[9:10], s[0:1], v[9:10]
	s_delay_alu instid0(VALU_DEP_2) | instskip(NEXT) | instid1(VALU_DEP_2)
	v_cvt_f32_f64_e32 v3, v[3:4]
	v_cvt_f32_f64_e32 v4, v[9:10]
	global_store_b64 v[7:8], v[3:4], off
	global_load_b64 v[3:4], v93, s[8:9] offset:2016
	v_add_co_u32 v7, vcc_lo, v7, s2
	s_wait_alu 0xfffd
	v_add_co_ci_u32_e32 v8, vcc_lo, s3, v8, vcc_lo
	s_wait_loadcnt 0x0
	v_mul_f32_e32 v9, v6, v4
	v_mul_f32_e32 v4, v5, v4
	s_delay_alu instid0(VALU_DEP_2) | instskip(NEXT) | instid1(VALU_DEP_2)
	v_fmac_f32_e32 v9, v5, v3
	v_fma_f32 v5, v3, v6, -v4
	s_delay_alu instid0(VALU_DEP_2) | instskip(NEXT) | instid1(VALU_DEP_2)
	v_cvt_f64_f32_e32 v[3:4], v9
	v_cvt_f64_f32_e32 v[5:6], v5
	s_delay_alu instid0(VALU_DEP_2) | instskip(NEXT) | instid1(VALU_DEP_2)
	v_mul_f64_e32 v[3:4], s[0:1], v[3:4]
	v_mul_f64_e32 v[5:6], s[0:1], v[5:6]
	s_delay_alu instid0(VALU_DEP_2) | instskip(NEXT) | instid1(VALU_DEP_2)
	v_cvt_f32_f64_e32 v3, v[3:4]
	v_cvt_f32_f64_e32 v4, v[5:6]
	global_store_b64 v[7:8], v[3:4], off
	global_load_b64 v[9:10], v93, s[8:9] offset:2520
	ds_load_2addr_b64 v[3:6], v2 offset0:59 offset1:122
	v_add_co_u32 v7, vcc_lo, v7, s2
	s_wait_alu 0xfffd
	v_add_co_ci_u32_e32 v8, vcc_lo, s3, v8, vcc_lo
	s_wait_loadcnt_dscnt 0x0
	v_mul_f32_e32 v11, v4, v10
	v_mul_f32_e32 v10, v3, v10
	s_delay_alu instid0(VALU_DEP_2) | instskip(NEXT) | instid1(VALU_DEP_2)
	v_fmac_f32_e32 v11, v3, v9
	v_fma_f32 v9, v9, v4, -v10
	s_delay_alu instid0(VALU_DEP_2) | instskip(NEXT) | instid1(VALU_DEP_2)
	v_cvt_f64_f32_e32 v[3:4], v11
	v_cvt_f64_f32_e32 v[9:10], v9
	s_delay_alu instid0(VALU_DEP_2) | instskip(NEXT) | instid1(VALU_DEP_2)
	v_mul_f64_e32 v[3:4], s[0:1], v[3:4]
	v_mul_f64_e32 v[9:10], s[0:1], v[9:10]
	s_delay_alu instid0(VALU_DEP_2) | instskip(NEXT) | instid1(VALU_DEP_2)
	v_cvt_f32_f64_e32 v3, v[3:4]
	v_cvt_f32_f64_e32 v4, v[9:10]
	global_store_b64 v[7:8], v[3:4], off
	global_load_b64 v[3:4], v93, s[8:9] offset:3024
	s_wait_loadcnt 0x0
	v_mul_f32_e32 v9, v6, v4
	v_mul_f32_e32 v4, v5, v4
	s_delay_alu instid0(VALU_DEP_2) | instskip(NEXT) | instid1(VALU_DEP_2)
	v_fmac_f32_e32 v9, v5, v3
	v_fma_f32 v5, v3, v6, -v4
	s_delay_alu instid0(VALU_DEP_2) | instskip(NEXT) | instid1(VALU_DEP_2)
	v_cvt_f64_f32_e32 v[3:4], v9
	v_cvt_f64_f32_e32 v[5:6], v5
	s_delay_alu instid0(VALU_DEP_2) | instskip(NEXT) | instid1(VALU_DEP_2)
	v_mul_f64_e32 v[3:4], s[0:1], v[3:4]
	v_mul_f64_e32 v[5:6], s[0:1], v[5:6]
	s_delay_alu instid0(VALU_DEP_2) | instskip(NEXT) | instid1(VALU_DEP_2)
	v_cvt_f32_f64_e32 v3, v[3:4]
	v_cvt_f32_f64_e32 v4, v[5:6]
	v_add_co_u32 v6, vcc_lo, v7, s2
	s_wait_alu 0xfffd
	v_add_co_ci_u32_e32 v7, vcc_lo, s3, v8, vcc_lo
	global_store_b64 v[6:7], v[3:4], off
	global_load_b64 v[8:9], v93, s[8:9] offset:3528
	ds_load_2addr_b64 v[2:5], v2 offset0:185 offset1:248
	v_add_co_u32 v6, vcc_lo, v6, s2
	s_wait_alu 0xfffd
	v_add_co_ci_u32_e32 v7, vcc_lo, s3, v7, vcc_lo
	s_wait_loadcnt_dscnt 0x0
	v_mul_f32_e32 v10, v3, v9
	v_mul_f32_e32 v9, v2, v9
	s_delay_alu instid0(VALU_DEP_2) | instskip(NEXT) | instid1(VALU_DEP_2)
	v_fmac_f32_e32 v10, v2, v8
	v_fma_f32 v8, v8, v3, -v9
	s_delay_alu instid0(VALU_DEP_2) | instskip(NEXT) | instid1(VALU_DEP_2)
	v_cvt_f64_f32_e32 v[2:3], v10
	v_cvt_f64_f32_e32 v[8:9], v8
	s_delay_alu instid0(VALU_DEP_2) | instskip(NEXT) | instid1(VALU_DEP_2)
	v_mul_f64_e32 v[2:3], s[0:1], v[2:3]
	v_mul_f64_e32 v[8:9], s[0:1], v[8:9]
	s_delay_alu instid0(VALU_DEP_2) | instskip(NEXT) | instid1(VALU_DEP_2)
	v_cvt_f32_f64_e32 v2, v[2:3]
	v_cvt_f32_f64_e32 v3, v[8:9]
	global_store_b64 v[6:7], v[2:3], off
	global_load_b64 v[2:3], v93, s[8:9] offset:4032
	v_add_co_u32 v6, vcc_lo, v6, s2
	s_wait_alu 0xfffd
	v_add_co_ci_u32_e32 v7, vcc_lo, s3, v7, vcc_lo
	s_wait_loadcnt 0x0
	v_mul_f32_e32 v8, v5, v3
	v_mul_f32_e32 v3, v4, v3
	s_delay_alu instid0(VALU_DEP_2) | instskip(NEXT) | instid1(VALU_DEP_2)
	v_fmac_f32_e32 v8, v4, v2
	v_fma_f32 v4, v2, v5, -v3
	s_delay_alu instid0(VALU_DEP_2) | instskip(NEXT) | instid1(VALU_DEP_2)
	v_cvt_f64_f32_e32 v[2:3], v8
	v_cvt_f64_f32_e32 v[4:5], v4
	s_delay_alu instid0(VALU_DEP_2) | instskip(NEXT) | instid1(VALU_DEP_2)
	v_mul_f64_e32 v[2:3], s[0:1], v[2:3]
	v_mul_f64_e32 v[4:5], s[0:1], v[4:5]
	s_delay_alu instid0(VALU_DEP_2) | instskip(NEXT) | instid1(VALU_DEP_2)
	v_cvt_f32_f64_e32 v2, v[2:3]
	v_cvt_f32_f64_e32 v3, v[4:5]
	global_store_b64 v[6:7], v[2:3], off
	global_load_b64 v[8:9], v93, s[8:9] offset:4536
	ds_load_2addr_b64 v[2:5], v1 offset0:55 offset1:118
	v_add_co_u32 v6, vcc_lo, v6, s2
	s_wait_alu 0xfffd
	v_add_co_ci_u32_e32 v7, vcc_lo, s3, v7, vcc_lo
	s_wait_loadcnt_dscnt 0x0
	v_mul_f32_e32 v10, v3, v9
	v_mul_f32_e32 v9, v2, v9
	s_delay_alu instid0(VALU_DEP_2) | instskip(NEXT) | instid1(VALU_DEP_2)
	v_fmac_f32_e32 v10, v2, v8
	v_fma_f32 v8, v8, v3, -v9
	s_delay_alu instid0(VALU_DEP_2) | instskip(NEXT) | instid1(VALU_DEP_2)
	v_cvt_f64_f32_e32 v[2:3], v10
	v_cvt_f64_f32_e32 v[8:9], v8
	s_delay_alu instid0(VALU_DEP_2) | instskip(NEXT) | instid1(VALU_DEP_2)
	v_mul_f64_e32 v[2:3], s[0:1], v[2:3]
	v_mul_f64_e32 v[8:9], s[0:1], v[8:9]
	s_delay_alu instid0(VALU_DEP_2) | instskip(NEXT) | instid1(VALU_DEP_2)
	v_cvt_f32_f64_e32 v2, v[2:3]
	v_cvt_f32_f64_e32 v3, v[8:9]
	global_store_b64 v[6:7], v[2:3], off
	global_load_b64 v[2:3], v93, s[8:9] offset:5040
	s_wait_loadcnt 0x0
	v_mul_f32_e32 v8, v5, v3
	v_mul_f32_e32 v3, v4, v3
	s_delay_alu instid0(VALU_DEP_2) | instskip(NEXT) | instid1(VALU_DEP_2)
	v_fmac_f32_e32 v8, v4, v2
	v_fma_f32 v4, v2, v5, -v3
	s_delay_alu instid0(VALU_DEP_2) | instskip(NEXT) | instid1(VALU_DEP_2)
	v_cvt_f64_f32_e32 v[2:3], v8
	v_cvt_f64_f32_e32 v[4:5], v4
	s_delay_alu instid0(VALU_DEP_2) | instskip(NEXT) | instid1(VALU_DEP_2)
	v_mul_f64_e32 v[2:3], s[0:1], v[2:3]
	v_mul_f64_e32 v[4:5], s[0:1], v[4:5]
	s_delay_alu instid0(VALU_DEP_2) | instskip(NEXT) | instid1(VALU_DEP_2)
	v_cvt_f32_f64_e32 v2, v[2:3]
	v_cvt_f32_f64_e32 v3, v[4:5]
	v_add_co_u32 v5, vcc_lo, v6, s2
	s_wait_alu 0xfffd
	v_add_co_ci_u32_e32 v6, vcc_lo, s3, v7, vcc_lo
	global_store_b64 v[5:6], v[2:3], off
	global_load_b64 v[7:8], v93, s[8:9] offset:5544
	ds_load_2addr_b64 v[1:4], v1 offset0:181 offset1:244
	v_add_co_u32 v5, vcc_lo, v5, s2
	s_wait_alu 0xfffd
	v_add_co_ci_u32_e32 v6, vcc_lo, s3, v6, vcc_lo
	s_wait_loadcnt_dscnt 0x0
	v_mul_f32_e32 v9, v2, v8
	v_mul_f32_e32 v8, v1, v8
	s_delay_alu instid0(VALU_DEP_2) | instskip(NEXT) | instid1(VALU_DEP_2)
	v_fmac_f32_e32 v9, v1, v7
	v_fma_f32 v7, v7, v2, -v8
	s_delay_alu instid0(VALU_DEP_2) | instskip(NEXT) | instid1(VALU_DEP_2)
	v_cvt_f64_f32_e32 v[1:2], v9
	v_cvt_f64_f32_e32 v[7:8], v7
	s_delay_alu instid0(VALU_DEP_2) | instskip(NEXT) | instid1(VALU_DEP_2)
	v_mul_f64_e32 v[1:2], s[0:1], v[1:2]
	v_mul_f64_e32 v[7:8], s[0:1], v[7:8]
	s_delay_alu instid0(VALU_DEP_2) | instskip(NEXT) | instid1(VALU_DEP_2)
	v_cvt_f32_f64_e32 v1, v[1:2]
	v_cvt_f32_f64_e32 v2, v[7:8]
	global_store_b64 v[5:6], v[1:2], off
	global_load_b64 v[1:2], v93, s[8:9] offset:6048
	v_add_co_u32 v5, vcc_lo, v5, s2
	s_wait_alu 0xfffd
	v_add_co_ci_u32_e32 v6, vcc_lo, s3, v6, vcc_lo
	s_wait_loadcnt 0x0
	v_mul_f32_e32 v7, v4, v2
	v_mul_f32_e32 v2, v3, v2
	s_delay_alu instid0(VALU_DEP_2) | instskip(NEXT) | instid1(VALU_DEP_2)
	v_fmac_f32_e32 v7, v3, v1
	v_fma_f32 v3, v1, v4, -v2
	s_delay_alu instid0(VALU_DEP_2) | instskip(NEXT) | instid1(VALU_DEP_2)
	v_cvt_f64_f32_e32 v[1:2], v7
	v_cvt_f64_f32_e32 v[3:4], v3
	s_delay_alu instid0(VALU_DEP_2) | instskip(NEXT) | instid1(VALU_DEP_2)
	v_mul_f64_e32 v[1:2], s[0:1], v[1:2]
	v_mul_f64_e32 v[3:4], s[0:1], v[3:4]
	s_delay_alu instid0(VALU_DEP_2) | instskip(NEXT) | instid1(VALU_DEP_2)
	v_cvt_f32_f64_e32 v1, v[1:2]
	v_cvt_f32_f64_e32 v2, v[3:4]
	global_store_b64 v[5:6], v[1:2], off
	global_load_b64 v[7:8], v93, s[8:9] offset:6552
	ds_load_2addr_b64 v[1:4], v0 offset0:51 offset1:114
	v_add_co_u32 v5, vcc_lo, v5, s2
	s_wait_alu 0xfffd
	v_add_co_ci_u32_e32 v6, vcc_lo, s3, v6, vcc_lo
	s_wait_loadcnt_dscnt 0x0
	v_mul_f32_e32 v9, v2, v8
	v_mul_f32_e32 v8, v1, v8
	s_delay_alu instid0(VALU_DEP_2) | instskip(NEXT) | instid1(VALU_DEP_2)
	v_fmac_f32_e32 v9, v1, v7
	v_fma_f32 v7, v7, v2, -v8
	s_delay_alu instid0(VALU_DEP_2) | instskip(NEXT) | instid1(VALU_DEP_2)
	v_cvt_f64_f32_e32 v[1:2], v9
	v_cvt_f64_f32_e32 v[7:8], v7
	s_delay_alu instid0(VALU_DEP_2) | instskip(NEXT) | instid1(VALU_DEP_2)
	v_mul_f64_e32 v[1:2], s[0:1], v[1:2]
	v_mul_f64_e32 v[7:8], s[0:1], v[7:8]
	s_delay_alu instid0(VALU_DEP_2) | instskip(NEXT) | instid1(VALU_DEP_2)
	v_cvt_f32_f64_e32 v1, v[1:2]
	v_cvt_f32_f64_e32 v2, v[7:8]
	global_store_b64 v[5:6], v[1:2], off
	global_load_b64 v[1:2], v93, s[8:9] offset:7056
	s_wait_loadcnt 0x0
	v_mul_f32_e32 v7, v4, v2
	v_mul_f32_e32 v2, v3, v2
	s_delay_alu instid0(VALU_DEP_2) | instskip(NEXT) | instid1(VALU_DEP_2)
	v_fmac_f32_e32 v7, v3, v1
	v_fma_f32 v3, v1, v4, -v2
	s_delay_alu instid0(VALU_DEP_2) | instskip(NEXT) | instid1(VALU_DEP_2)
	v_cvt_f64_f32_e32 v[1:2], v7
	v_cvt_f64_f32_e32 v[3:4], v3
	s_delay_alu instid0(VALU_DEP_2) | instskip(NEXT) | instid1(VALU_DEP_2)
	v_mul_f64_e32 v[1:2], s[0:1], v[1:2]
	v_mul_f64_e32 v[3:4], s[0:1], v[3:4]
	s_delay_alu instid0(VALU_DEP_2) | instskip(NEXT) | instid1(VALU_DEP_2)
	v_cvt_f32_f64_e32 v1, v[1:2]
	v_cvt_f32_f64_e32 v2, v[3:4]
	v_add_co_u32 v4, vcc_lo, v5, s2
	s_wait_alu 0xfffd
	v_add_co_ci_u32_e32 v5, vcc_lo, s3, v6, vcc_lo
	global_store_b64 v[4:5], v[1:2], off
	global_load_b64 v[6:7], v93, s[8:9] offset:7560
	ds_load_2addr_b64 v[0:3], v0 offset0:177 offset1:240
	v_add_co_u32 v4, vcc_lo, v4, s2
	s_wait_alu 0xfffd
	v_add_co_ci_u32_e32 v5, vcc_lo, s3, v5, vcc_lo
	s_wait_loadcnt_dscnt 0x0
	v_mul_f32_e32 v8, v1, v7
	v_mul_f32_e32 v7, v0, v7
	s_delay_alu instid0(VALU_DEP_2) | instskip(NEXT) | instid1(VALU_DEP_2)
	v_fmac_f32_e32 v8, v0, v6
	v_fma_f32 v6, v6, v1, -v7
	s_delay_alu instid0(VALU_DEP_2) | instskip(NEXT) | instid1(VALU_DEP_2)
	v_cvt_f64_f32_e32 v[0:1], v8
	v_cvt_f64_f32_e32 v[6:7], v6
	s_delay_alu instid0(VALU_DEP_2) | instskip(NEXT) | instid1(VALU_DEP_2)
	v_mul_f64_e32 v[0:1], s[0:1], v[0:1]
	v_mul_f64_e32 v[6:7], s[0:1], v[6:7]
	s_delay_alu instid0(VALU_DEP_2) | instskip(NEXT) | instid1(VALU_DEP_2)
	v_cvt_f32_f64_e32 v0, v[0:1]
	v_cvt_f32_f64_e32 v1, v[6:7]
	global_store_b64 v[4:5], v[0:1], off
	global_load_b64 v[0:1], v93, s[8:9] offset:8064
	s_wait_loadcnt 0x0
	v_mul_f32_e32 v6, v3, v1
	v_mul_f32_e32 v1, v2, v1
	s_delay_alu instid0(VALU_DEP_2) | instskip(NEXT) | instid1(VALU_DEP_2)
	v_fmac_f32_e32 v6, v2, v0
	v_fma_f32 v2, v0, v3, -v1
	s_delay_alu instid0(VALU_DEP_2) | instskip(NEXT) | instid1(VALU_DEP_2)
	v_cvt_f64_f32_e32 v[0:1], v6
	v_cvt_f64_f32_e32 v[2:3], v2
	s_delay_alu instid0(VALU_DEP_2) | instskip(NEXT) | instid1(VALU_DEP_2)
	v_mul_f64_e32 v[0:1], s[0:1], v[0:1]
	v_mul_f64_e32 v[2:3], s[0:1], v[2:3]
	s_delay_alu instid0(VALU_DEP_2) | instskip(NEXT) | instid1(VALU_DEP_2)
	v_cvt_f32_f64_e32 v0, v[0:1]
	v_cvt_f32_f64_e32 v1, v[2:3]
	v_add_co_u32 v2, vcc_lo, v4, s2
	s_wait_alu 0xfffd
	v_add_co_ci_u32_e32 v3, vcc_lo, s3, v5, vcc_lo
	global_store_b64 v[2:3], v[0:1], off
.LBB0_23:
	s_nop 0
	s_sendmsg sendmsg(MSG_DEALLOC_VGPRS)
	s_endpgm
	.section	.rodata,"a",@progbits
	.p2align	6, 0x0
	.amdhsa_kernel bluestein_single_fwd_len1071_dim1_sp_op_CI_CI
		.amdhsa_group_segment_fixed_size 8568
		.amdhsa_private_segment_fixed_size 0
		.amdhsa_kernarg_size 104
		.amdhsa_user_sgpr_count 2
		.amdhsa_user_sgpr_dispatch_ptr 0
		.amdhsa_user_sgpr_queue_ptr 0
		.amdhsa_user_sgpr_kernarg_segment_ptr 1
		.amdhsa_user_sgpr_dispatch_id 0
		.amdhsa_user_sgpr_private_segment_size 0
		.amdhsa_wavefront_size32 1
		.amdhsa_uses_dynamic_stack 0
		.amdhsa_enable_private_segment 0
		.amdhsa_system_sgpr_workgroup_id_x 1
		.amdhsa_system_sgpr_workgroup_id_y 0
		.amdhsa_system_sgpr_workgroup_id_z 0
		.amdhsa_system_sgpr_workgroup_info 0
		.amdhsa_system_vgpr_workitem_id 0
		.amdhsa_next_free_vgpr 216
		.amdhsa_next_free_sgpr 14
		.amdhsa_reserve_vcc 1
		.amdhsa_float_round_mode_32 0
		.amdhsa_float_round_mode_16_64 0
		.amdhsa_float_denorm_mode_32 3
		.amdhsa_float_denorm_mode_16_64 3
		.amdhsa_fp16_overflow 0
		.amdhsa_workgroup_processor_mode 1
		.amdhsa_memory_ordered 1
		.amdhsa_forward_progress 0
		.amdhsa_round_robin_scheduling 0
		.amdhsa_exception_fp_ieee_invalid_op 0
		.amdhsa_exception_fp_denorm_src 0
		.amdhsa_exception_fp_ieee_div_zero 0
		.amdhsa_exception_fp_ieee_overflow 0
		.amdhsa_exception_fp_ieee_underflow 0
		.amdhsa_exception_fp_ieee_inexact 0
		.amdhsa_exception_int_div_zero 0
	.end_amdhsa_kernel
	.text
.Lfunc_end0:
	.size	bluestein_single_fwd_len1071_dim1_sp_op_CI_CI, .Lfunc_end0-bluestein_single_fwd_len1071_dim1_sp_op_CI_CI
                                        ; -- End function
	.section	.AMDGPU.csdata,"",@progbits
; Kernel info:
; codeLenInByte = 21076
; NumSgprs: 16
; NumVgprs: 216
; ScratchSize: 0
; MemoryBound: 0
; FloatMode: 240
; IeeeMode: 1
; LDSByteSize: 8568 bytes/workgroup (compile time only)
; SGPRBlocks: 1
; VGPRBlocks: 26
; NumSGPRsForWavesPerEU: 16
; NumVGPRsForWavesPerEU: 216
; Occupancy: 7
; WaveLimiterHint : 1
; COMPUTE_PGM_RSRC2:SCRATCH_EN: 0
; COMPUTE_PGM_RSRC2:USER_SGPR: 2
; COMPUTE_PGM_RSRC2:TRAP_HANDLER: 0
; COMPUTE_PGM_RSRC2:TGID_X_EN: 1
; COMPUTE_PGM_RSRC2:TGID_Y_EN: 0
; COMPUTE_PGM_RSRC2:TGID_Z_EN: 0
; COMPUTE_PGM_RSRC2:TIDIG_COMP_CNT: 0
	.text
	.p2alignl 7, 3214868480
	.fill 96, 4, 3214868480
	.type	__hip_cuid_afd3dd4bb66d3d96,@object ; @__hip_cuid_afd3dd4bb66d3d96
	.section	.bss,"aw",@nobits
	.globl	__hip_cuid_afd3dd4bb66d3d96
__hip_cuid_afd3dd4bb66d3d96:
	.byte	0                               ; 0x0
	.size	__hip_cuid_afd3dd4bb66d3d96, 1

	.ident	"AMD clang version 19.0.0git (https://github.com/RadeonOpenCompute/llvm-project roc-6.4.0 25133 c7fe45cf4b819c5991fe208aaa96edf142730f1d)"
	.section	".note.GNU-stack","",@progbits
	.addrsig
	.addrsig_sym __hip_cuid_afd3dd4bb66d3d96
	.amdgpu_metadata
---
amdhsa.kernels:
  - .args:
      - .actual_access:  read_only
        .address_space:  global
        .offset:         0
        .size:           8
        .value_kind:     global_buffer
      - .actual_access:  read_only
        .address_space:  global
        .offset:         8
        .size:           8
        .value_kind:     global_buffer
      - .actual_access:  read_only
        .address_space:  global
        .offset:         16
        .size:           8
        .value_kind:     global_buffer
      - .actual_access:  read_only
        .address_space:  global
        .offset:         24
        .size:           8
        .value_kind:     global_buffer
      - .actual_access:  read_only
        .address_space:  global
        .offset:         32
        .size:           8
        .value_kind:     global_buffer
      - .offset:         40
        .size:           8
        .value_kind:     by_value
      - .address_space:  global
        .offset:         48
        .size:           8
        .value_kind:     global_buffer
      - .address_space:  global
        .offset:         56
        .size:           8
        .value_kind:     global_buffer
      - .address_space:  global
        .offset:         64
        .size:           8
        .value_kind:     global_buffer
      - .address_space:  global
        .offset:         72
        .size:           8
        .value_kind:     global_buffer
      - .offset:         80
        .size:           4
        .value_kind:     by_value
      - .address_space:  global
        .offset:         88
        .size:           8
        .value_kind:     global_buffer
      - .address_space:  global
        .offset:         96
        .size:           8
        .value_kind:     global_buffer
    .group_segment_fixed_size: 8568
    .kernarg_segment_align: 8
    .kernarg_segment_size: 104
    .language:       OpenCL C
    .language_version:
      - 2
      - 0
    .max_flat_workgroup_size: 119
    .name:           bluestein_single_fwd_len1071_dim1_sp_op_CI_CI
    .private_segment_fixed_size: 0
    .sgpr_count:     16
    .sgpr_spill_count: 0
    .symbol:         bluestein_single_fwd_len1071_dim1_sp_op_CI_CI.kd
    .uniform_work_group_size: 1
    .uses_dynamic_stack: false
    .vgpr_count:     216
    .vgpr_spill_count: 0
    .wavefront_size: 32
    .workgroup_processor_mode: 1
amdhsa.target:   amdgcn-amd-amdhsa--gfx1201
amdhsa.version:
  - 1
  - 2
...

	.end_amdgpu_metadata
